;; amdgpu-corpus repo=ROCm/rocFFT kind=compiled arch=gfx1030 opt=O3
	.text
	.amdgcn_target "amdgcn-amd-amdhsa--gfx1030"
	.amdhsa_code_object_version 6
	.protected	bluestein_single_back_len260_dim1_sp_op_CI_CI ; -- Begin function bluestein_single_back_len260_dim1_sp_op_CI_CI
	.globl	bluestein_single_back_len260_dim1_sp_op_CI_CI
	.p2align	8
	.type	bluestein_single_back_len260_dim1_sp_op_CI_CI,@function
bluestein_single_back_len260_dim1_sp_op_CI_CI: ; @bluestein_single_back_len260_dim1_sp_op_CI_CI
; %bb.0:
	s_load_dwordx4 s[0:3], s[4:5], 0x28
	v_mul_u32_u24_e32 v1, 0x9d9, v0
	v_mov_b32_e32 v41, 0
	v_lshrrev_b32_e32 v1, 16, v1
	v_lshl_add_u32 v40, s6, 1, v1
	s_waitcnt lgkmcnt(0)
	v_cmp_gt_u64_e32 vcc_lo, s[0:1], v[40:41]
	s_and_saveexec_b32 s0, vcc_lo
	s_cbranch_execz .LBB0_15
; %bb.1:
	v_mul_lo_u16 v2, v1, 26
	s_clause 0x1
	s_load_dwordx2 s[14:15], s[4:5], 0x0
	s_load_dwordx2 s[12:13], s[4:5], 0x38
	v_and_b32_e32 v1, 1, v1
	v_sub_nc_u16 v0, v0, v2
	v_cmp_eq_u32_e32 vcc_lo, 1, v1
	v_and_b32_e32 v64, 0xffff, v0
	v_cndmask_b32_e64 v61, 0, 0x104, vcc_lo
	v_cmp_gt_u16_e32 vcc_lo, 20, v0
	v_lshlrev_b32_e32 v63, 3, v64
	v_or_b32_e32 v62, 0xa0, v64
	v_lshlrev_b32_e32 v65, 3, v61
	s_and_saveexec_b32 s1, vcc_lo
	s_cbranch_execz .LBB0_3
; %bb.2:
	s_load_dwordx2 s[6:7], s[4:5], 0x18
	s_waitcnt lgkmcnt(0)
	global_load_dwordx2 v[10:11], v63, s[14:15]
	v_add_nc_u32_e32 v59, v65, v63
	s_load_dwordx4 s[8:11], s[6:7], 0x0
	s_waitcnt lgkmcnt(0)
	v_mad_u64_u32 v[0:1], null, s10, v40, 0
	v_mad_u64_u32 v[2:3], null, s8, v64, 0
	s_mul_i32 s6, s9, 0xa0
	s_mul_hi_u32 s7, s8, 0xa0
	s_mul_i32 s10, s8, 0xa0
	s_add_i32 s7, s7, s6
	v_mad_u64_u32 v[4:5], null, s11, v40, v[1:2]
	v_mad_u64_u32 v[5:6], null, s9, v64, v[3:4]
	v_mov_b32_e32 v1, v4
	v_lshlrev_b64 v[0:1], 3, v[0:1]
	v_mov_b32_e32 v3, v5
	v_mad_u64_u32 v[4:5], null, s8, v62, 0
	v_lshlrev_b64 v[2:3], 3, v[2:3]
	v_add_co_u32 v16, s0, s2, v0
	v_add_co_ci_u32_e64 v17, s0, s3, v1, s0
	v_add_co_u32 v0, s0, v16, v2
	v_add_co_ci_u32_e64 v1, s0, v17, v3, s0
	v_mov_b32_e32 v2, v5
	v_add_co_u32 v6, s0, v0, s10
	v_add_co_ci_u32_e64 v7, s0, s7, v1, s0
	v_mad_u64_u32 v[2:3], null, s9, v62, v[2:3]
	v_add_co_u32 v8, s0, v6, s10
	v_add_co_ci_u32_e64 v9, s0, s7, v7, s0
	global_load_dwordx2 v[0:1], v[0:1], off
	v_add_co_u32 v12, s0, v8, s10
	v_add_co_ci_u32_e64 v13, s0, s7, v9, s0
	v_mov_b32_e32 v5, v2
	v_add_co_u32 v2, s0, v12, s10
	v_add_co_ci_u32_e64 v3, s0, s7, v13, s0
	v_lshlrev_b64 v[4:5], 3, v[4:5]
	v_add_co_u32 v14, s0, v2, s10
	v_add_co_ci_u32_e64 v15, s0, s7, v3, s0
	v_add_co_u32 v4, s0, v16, v4
	v_add_co_ci_u32_e64 v5, s0, v17, v5, s0
	global_load_dwordx2 v[20:21], v63, s[14:15] offset:1280
	global_load_dwordx2 v[4:5], v[4:5], off
	global_load_dwordx2 v[22:23], v63, s[14:15] offset:160
	s_clause 0x1
	global_load_dwordx2 v[6:7], v[6:7], off
	global_load_dwordx2 v[8:9], v[8:9], off
	s_clause 0x1
	global_load_dwordx2 v[26:27], v63, s[14:15] offset:320
	global_load_dwordx2 v[28:29], v63, s[14:15] offset:480
	s_clause 0x1
	global_load_dwordx2 v[12:13], v[12:13], off
	global_load_dwordx2 v[2:3], v[2:3], off
	v_add_co_u32 v16, s0, v14, s10
	v_add_co_ci_u32_e64 v17, s0, s7, v15, s0
	v_add_co_u32 v18, s0, v16, s10
	v_add_co_ci_u32_e64 v19, s0, s7, v17, s0
	v_mad_u64_u32 v[24:25], null, 0x140, s8, v[18:19]
	v_add_co_u32 v45, s0, v24, s10
	s_waitcnt vmcnt(9)
	v_mul_f32_e32 v39, v0, v11
	v_mul_f32_e32 v55, v1, v11
	v_fma_f32 v56, v1, v10, -v39
	v_fmac_f32_e32 v55, v0, v10
	s_waitcnt vmcnt(3)
	v_mad_u64_u32 v[30:31], null, 0x140, s9, v[25:26]
	s_clause 0x5
	global_load_dwordx2 v[31:32], v63, s[14:15] offset:640
	global_load_dwordx2 v[33:34], v63, s[14:15] offset:800
	;; [unrolled: 1-line block ×6, first 2 shown]
	global_load_dwordx2 v[14:15], v[14:15], off
	global_load_dwordx2 v[16:17], v[16:17], off
	;; [unrolled: 1-line block ×3, first 2 shown]
	v_mul_f32_e32 v57, v5, v21
	v_mul_f32_e32 v11, v4, v21
	;; [unrolled: 1-line block ×4, first 2 shown]
	v_mov_b32_e32 v25, v30
	v_fmac_f32_e32 v57, v4, v20
	v_mul_f32_e32 v4, v9, v27
	v_mul_f32_e32 v10, v8, v27
	v_lshl_add_u32 v30, v64, 3, v65
	v_add_co_ci_u32_e64 v46, s0, s7, v25, s0
	v_add_co_u32 v47, s0, v45, s10
	global_load_dwordx2 v[24:25], v[24:25], off
	v_add_co_ci_u32_e64 v48, s0, s7, v46, s0
	v_add_co_u32 v49, s0, v47, s10
	global_load_dwordx2 v[45:46], v[45:46], off
	v_add_co_ci_u32_e64 v50, s0, s7, v48, s0
	global_load_dwordx2 v[51:52], v63, s[14:15] offset:1760
	global_load_dwordx2 v[47:48], v[47:48], off
	global_load_dwordx2 v[53:54], v63, s[14:15] offset:1920
	global_load_dwordx2 v[49:50], v[49:50], off
	v_fma_f32 v58, v5, v20, -v11
	v_fma_f32 v1, v7, v22, -v1
	v_fmac_f32_e32 v0, v6, v22
	v_fmac_f32_e32 v4, v8, v26
	v_fma_f32 v5, v9, v26, -v10
	ds_write_b64 v30, v[55:56]
	s_waitcnt vmcnt(16)
	v_mul_f32_e32 v6, v13, v29
	v_mul_f32_e32 v7, v12, v29
	ds_write2_b64 v59, v[0:1], v[4:5] offset0:20 offset1:40
	v_fmac_f32_e32 v6, v12, v28
	v_fma_f32 v7, v13, v28, -v7
	s_waitcnt vmcnt(14)
	v_mul_f32_e32 v8, v3, v32
	v_mul_f32_e32 v1, v2, v32
	v_fmac_f32_e32 v8, v2, v31
	s_waitcnt vmcnt(8)
	v_mul_f32_e32 v4, v14, v34
	v_mul_f32_e32 v0, v15, v34
	s_waitcnt vmcnt(7)
	v_mul_f32_e32 v2, v17, v36
	v_fma_f32 v9, v3, v31, -v1
	v_mul_f32_e32 v3, v16, v36
	v_fma_f32 v1, v15, v33, -v4
	s_waitcnt vmcnt(6)
	v_mul_f32_e32 v4, v19, v38
	v_mul_f32_e32 v5, v18, v38
	v_fmac_f32_e32 v0, v14, v33
	v_fmac_f32_e32 v2, v16, v35
	v_fma_f32 v3, v17, v35, -v3
	v_fmac_f32_e32 v4, v18, v37
	v_fma_f32 v5, v19, v37, -v5
	s_waitcnt vmcnt(5)
	v_mul_f32_e32 v10, v25, v42
	v_mul_f32_e32 v11, v24, v42
	s_waitcnt vmcnt(4)
	v_mul_f32_e32 v12, v46, v44
	v_mul_f32_e32 v13, v45, v44
	;; [unrolled: 3-line block ×4, first 2 shown]
	v_fmac_f32_e32 v10, v24, v41
	v_fma_f32 v11, v25, v41, -v11
	v_fmac_f32_e32 v12, v45, v43
	v_fma_f32 v13, v46, v43, -v13
	;; [unrolled: 2-line block ×4, first 2 shown]
	ds_write2_b64 v59, v[6:7], v[8:9] offset0:60 offset1:80
	ds_write2_b64 v59, v[0:1], v[2:3] offset0:100 offset1:120
	;; [unrolled: 1-line block ×5, first 2 shown]
.LBB0_3:
	s_or_b32 exec_lo, exec_lo, s1
	s_clause 0x1
	s_load_dwordx2 s[6:7], s[4:5], 0x20
	s_load_dwordx2 s[2:3], s[4:5], 0x8
	v_mov_b32_e32 v4, 0
	v_mov_b32_e32 v5, 0
	s_waitcnt lgkmcnt(0)
	s_barrier
	buffer_gl0_inv
                                        ; implicit-def: $vgpr18
                                        ; implicit-def: $vgpr14
                                        ; implicit-def: $vgpr8
                                        ; implicit-def: $vgpr28
                                        ; implicit-def: $vgpr22
                                        ; implicit-def: $vgpr26
	s_and_saveexec_b32 s0, vcc_lo
	s_cbranch_execz .LBB0_5
; %bb.4:
	v_lshl_add_u32 v0, v61, 3, v63
	ds_read2_b64 v[4:7], v0 offset1:20
	ds_read2_b64 v[24:27], v0 offset0:40 offset1:60
	ds_read2_b64 v[20:23], v0 offset0:80 offset1:100
	;; [unrolled: 1-line block ×5, first 2 shown]
	ds_read_b64 v[28:29], v0 offset:1920
.LBB0_5:
	s_or_b32 exec_lo, exec_lo, s0
	s_waitcnt lgkmcnt(0)
	v_sub_f32_e32 v57, v7, v29
	v_add_f32_e32 v30, v28, v6
	v_sub_f32_e32 v60, v25, v11
	v_add_f32_e32 v31, v10, v24
	v_sub_f32_e32 v73, v27, v9
	v_mul_f32_e32 v39, 0xbeedf032, v57
	v_add_f32_e32 v34, v8, v26
	v_mul_f32_e32 v44, 0xbf52af12, v60
	v_sub_f32_e32 v80, v21, v15
	v_mul_f32_e32 v46, 0xbf7e222b, v73
	v_fmamk_f32 v0, v30, 0x3f62ad3f, v39
	v_sub_f32_e32 v68, v6, v28
	v_fmamk_f32 v2, v31, 0x3f116cb1, v44
	v_add_f32_e32 v36, v14, v20
	v_mul_f32_e32 v48, 0xbf6f5d39, v80
	v_add_f32_e32 v0, v0, v4
	v_sub_f32_e32 v83, v23, v13
	v_add_f32_e32 v32, v29, v7
	v_mul_f32_e32 v47, 0xbeedf032, v68
	v_sub_f32_e32 v69, v24, v10
	v_add_f32_e32 v0, v2, v0
	v_fmamk_f32 v2, v34, 0x3df6dbef, v46
	v_add_f32_e32 v38, v12, v22
	v_mul_f32_e32 v52, 0xbf29c268, v83
	v_fma_f32 v1, 0x3f62ad3f, v32, -v47
	v_add_f32_e32 v33, v11, v25
	v_add_f32_e32 v0, v2, v0
	v_fmamk_f32 v2, v36, 0xbeb58ec6, v48
	v_mul_f32_e32 v51, 0xbf52af12, v69
	v_sub_f32_e32 v74, v26, v8
	v_mul_f32_e32 v67, 0xbf52af12, v57
	v_add_f32_e32 v1, v1, v5
	v_add_f32_e32 v0, v2, v0
	v_fmamk_f32 v2, v38, 0xbf3f9e67, v52
	v_fma_f32 v3, 0x3f116cb1, v33, -v51
	v_add_f32_e32 v35, v9, v27
	v_mul_f32_e32 v50, 0xbf7e222b, v74
	v_sub_f32_e32 v81, v20, v14
	v_add_f32_e32 v0, v2, v0
	v_fmamk_f32 v2, v30, 0x3f116cb1, v67
	v_mul_f32_e32 v70, 0xbf6f5d39, v60
	v_add_f32_e32 v1, v3, v1
	v_fma_f32 v3, 0x3df6dbef, v35, -v50
	v_add_f32_e32 v37, v15, v21
	v_mul_f32_e32 v53, 0xbf6f5d39, v81
	v_sub_f32_e32 v84, v22, v12
	v_add_f32_e32 v2, v2, v4
	v_fmamk_f32 v42, v31, 0xbeb58ec6, v70
	v_mul_f32_e32 v71, 0xbe750f2a, v73
	v_add_f32_e32 v1, v3, v1
	v_fma_f32 v3, 0xbeb58ec6, v37, -v53
	v_add_f32_e32 v43, v13, v23
	v_mul_f32_e32 v54, 0xbf29c268, v84
	v_add_f32_e32 v2, v42, v2
	v_fmamk_f32 v42, v34, 0xbf788fa5, v71
	v_mul_f32_e32 v72, 0x3f29c268, v80
	v_add_f32_e32 v1, v3, v1
	v_fma_f32 v3, 0xbf3f9e67, v43, -v54
	v_mul_f32_e32 v76, 0xbf52af12, v68
	v_add_f32_e32 v2, v42, v2
	v_fmamk_f32 v42, v36, 0xbf3f9e67, v72
	v_mul_f32_e32 v58, 0x3f7e222b, v83
	v_add_f32_e32 v1, v3, v1
	v_fma_f32 v3, 0x3f116cb1, v32, -v76
	v_mul_f32_e32 v78, 0xbf6f5d39, v69
	v_add_f32_e32 v2, v42, v2
	v_fmamk_f32 v42, v38, 0x3df6dbef, v58
	v_mul_f32_e32 v87, 0xbf7e222b, v57
	v_mul_f32_e32 v97, 0xbf7e222b, v68
	v_add_f32_e32 v3, v3, v5
	v_fma_f32 v49, 0xbeb58ec6, v33, -v78
	v_mul_f32_e32 v79, 0xbe750f2a, v74
	v_add_f32_e32 v2, v42, v2
	v_fmamk_f32 v42, v30, 0x3df6dbef, v87
	v_mul_f32_e32 v93, 0xbe750f2a, v60
	v_fma_f32 v88, 0x3df6dbef, v32, -v97
	v_mul_f32_e32 v98, 0xbe750f2a, v69
	v_add_f32_e32 v3, v49, v3
	v_fma_f32 v56, 0xbf788fa5, v35, -v79
	v_mul_f32_e32 v75, 0x3f29c268, v81
	v_add_f32_e32 v42, v42, v4
	v_fmamk_f32 v89, v31, 0xbf788fa5, v93
	v_mul_f32_e32 v92, 0x3f6f5d39, v73
	v_add_f32_e32 v88, v88, v5
	v_fma_f32 v91, 0xbf788fa5, v33, -v98
	v_mul_f32_e32 v96, 0x3f6f5d39, v74
	v_sub_f32_e32 v85, v17, v19
	v_add_f32_e32 v3, v56, v3
	v_fma_f32 v59, 0xbf3f9e67, v37, -v75
	v_mul_f32_e32 v77, 0x3f7e222b, v84
	v_add_f32_e32 v42, v89, v42
	v_fmamk_f32 v89, v34, 0xbeb58ec6, v92
	v_mul_f32_e32 v90, 0x3eedf032, v80
	v_add_f32_e32 v88, v91, v88
	v_fma_f32 v91, 0xbeb58ec6, v35, -v96
	v_mul_f32_e32 v95, 0x3eedf032, v81
	v_add_f32_e32 v45, v18, v16
	v_mul_f32_e32 v55, 0xbe750f2a, v85
	v_sub_f32_e32 v86, v16, v18
	v_add_f32_e32 v3, v59, v3
	v_fma_f32 v59, 0x3df6dbef, v43, -v77
	v_add_f32_e32 v42, v89, v42
	v_fmamk_f32 v99, v36, 0x3f62ad3f, v90
	v_mul_f32_e32 v89, 0xbf52af12, v83
	v_add_f32_e32 v91, v91, v88
	v_fma_f32 v100, 0x3f62ad3f, v37, -v95
	v_mul_f32_e32 v94, 0xbf52af12, v84
	v_fmamk_f32 v41, v45, 0xbf788fa5, v55
	v_add_f32_e32 v49, v19, v17
	v_mul_f32_e32 v56, 0xbe750f2a, v86
	v_add_f32_e32 v3, v59, v3
	v_mul_f32_e32 v59, 0x3eedf032, v85
	v_mul_f32_e32 v82, 0x3eedf032, v86
	v_add_f32_e32 v42, v99, v42
	v_fmamk_f32 v99, v38, 0x3f116cb1, v89
	v_mul_f32_e32 v88, 0xbf29c268, v85
	v_add_f32_e32 v100, v100, v91
	v_fma_f32 v101, 0x3f116cb1, v43, -v94
	v_mul_f32_e32 v91, 0xbf29c268, v86
	v_add_f32_e32 v41, v41, v0
	v_fma_f32 v0, 0xbf788fa5, v49, -v56
	v_fmamk_f32 v66, v45, 0x3f62ad3f, v59
	v_fma_f32 v102, 0x3f62ad3f, v49, -v82
	v_add_f32_e32 v99, v99, v42
	v_fmamk_f32 v103, v45, 0xbf3f9e67, v88
	v_add_f32_e32 v100, v101, v100
	v_fma_f32 v101, 0xbf3f9e67, v49, -v91
	v_add_f32_e32 v42, v0, v1
	v_add_f32_e32 v2, v66, v2
	v_add_f32_e32 v3, v102, v3
	v_add_f32_e32 v0, v103, v99
	v_add_f32_e32 v1, v101, v100
	v_mul_lo_u16 v66, v64, 13
	s_barrier
	buffer_gl0_inv
	s_and_saveexec_b32 s0, vcc_lo
	s_cbranch_execz .LBB0_7
; %bb.6:
	v_mul_f32_e32 v101, 0xbf3f9e67, v32
	v_mul_f32_e32 v103, 0xbf29c268, v57
	v_mul_f32_e32 v102, 0x3df6dbef, v33
	v_mul_f32_e32 v106, 0x3f7e222b, v60
	v_mul_f32_e32 v104, 0x3f116cb1, v35
	v_fmamk_f32 v99, v68, 0x3f29c268, v101
	v_fmamk_f32 v100, v30, 0xbf3f9e67, v103
	v_mul_f32_e32 v107, 0xbf52af12, v73
	v_fmamk_f32 v108, v69, 0xbf7e222b, v102
	v_fmamk_f32 v109, v31, 0x3df6dbef, v106
	v_add_f32_e32 v99, v99, v5
	v_add_f32_e32 v100, v100, v4
	v_mul_f32_e32 v105, 0xbf788fa5, v37
	v_mul_f32_e32 v110, 0x3e750f2a, v80
	v_fmamk_f32 v111, v74, 0x3f52af12, v104
	v_add_f32_e32 v99, v108, v99
	v_fmamk_f32 v108, v34, 0x3f116cb1, v107
	v_add_f32_e32 v100, v109, v100
	v_mul_f32_e32 v109, 0x3f62ad3f, v43
	v_fmamk_f32 v112, v81, 0xbe750f2a, v105
	v_add_f32_e32 v99, v111, v99
	v_fmamk_f32 v111, v36, 0xbf788fa5, v110
	v_add_f32_e32 v100, v108, v100
	v_mul_f32_e32 v108, 0x3eedf032, v83
	v_mul_f32_e32 v113, 0xbeb58ec6, v49
	v_add_f32_e32 v99, v112, v99
	v_fmamk_f32 v112, v84, 0xbeedf032, v109
	v_add_f32_e32 v100, v111, v100
	v_mul_f32_e32 v111, 0xbe750f2a, v68
	v_fmamk_f32 v114, v38, 0x3f62ad3f, v108
	v_fmamk_f32 v115, v86, 0x3f6f5d39, v113
	v_add_f32_e32 v99, v112, v99
	v_mul_f32_e32 v116, 0x3eedf032, v69
	v_fmamk_f32 v112, v32, 0xbf788fa5, v111
	v_add_f32_e32 v114, v114, v100
	v_mul_f32_e32 v117, 0xbf29c268, v74
	v_add_f32_e32 v100, v115, v99
	v_mul_f32_e32 v115, 0xbe750f2a, v57
	v_add_f32_e32 v99, v112, v5
	v_fmamk_f32 v112, v33, 0x3f62ad3f, v116
	v_mul_f32_e32 v118, 0xbf6f5d39, v85
	v_fmac_f32_e32 v101, 0xbf29c268, v68
	v_fma_f32 v119, 0xbf788fa5, v30, -v115
	v_mul_f32_e32 v120, 0x3eedf032, v60
	v_add_f32_e32 v99, v112, v99
	v_fmamk_f32 v112, v35, 0xbf3f9e67, v117
	v_mul_f32_e32 v121, 0x3f52af12, v81
	v_fmamk_f32 v124, v45, 0xbeb58ec6, v118
	v_fma_f32 v103, 0xbf3f9e67, v30, -v103
	v_add_f32_e32 v101, v101, v5
	v_fmac_f32_e32 v102, 0x3f7e222b, v69
	v_add_f32_e32 v119, v119, v4
	v_fma_f32 v122, 0x3f62ad3f, v31, -v120
	v_mul_f32_e32 v123, 0xbf29c268, v73
	v_add_f32_e32 v112, v112, v99
	v_fmamk_f32 v125, v37, 0x3f116cb1, v121
	v_add_f32_e32 v99, v124, v114
	v_mul_f32_e32 v114, 0xbf6f5d39, v84
	v_add_f32_e32 v103, v103, v4
	v_fma_f32 v106, 0x3df6dbef, v31, -v106
	v_add_f32_e32 v101, v102, v101
	v_fmac_f32_e32 v104, 0xbf52af12, v74
	v_add_f32_e32 v119, v122, v119
	v_fma_f32 v122, 0xbf3f9e67, v34, -v123
	v_mul_f32_e32 v126, 0x3f52af12, v80
	v_add_f32_e32 v112, v125, v112
	v_fmamk_f32 v125, v43, 0xbeb58ec6, v114
	v_add_f32_e32 v102, v106, v103
	v_fma_f32 v103, 0x3f116cb1, v34, -v107
	v_mul_f32_e32 v106, 0x3f7e222b, v86
	v_add_f32_e32 v101, v104, v101
	v_fmac_f32_e32 v105, 0x3e750f2a, v81
	v_add_f32_e32 v119, v122, v119
	v_fma_f32 v122, 0x3f116cb1, v36, -v126
	v_mul_f32_e32 v124, 0xbf6f5d39, v83
	v_add_f32_e32 v112, v125, v112
	v_add_f32_e32 v102, v103, v102
	v_fma_f32 v103, 0xbf788fa5, v36, -v110
	v_fmamk_f32 v104, v49, 0x3df6dbef, v106
	v_add_f32_e32 v105, v105, v101
	v_fmac_f32_e32 v109, 0x3eedf032, v84
	v_add_f32_e32 v119, v122, v119
	v_fma_f32 v122, 0xbeb58ec6, v38, -v124
	v_mul_f32_e32 v107, 0x3f7e222b, v85
	v_add_f32_e32 v103, v103, v102
	v_fma_f32 v108, 0x3f62ad3f, v38, -v108
	v_add_f32_e32 v102, v104, v112
	v_add_f32_e32 v104, v109, v105
	v_mul_f32_e32 v105, 0xbf6f5d39, v68
	v_add_f32_e32 v119, v122, v119
	v_fma_f32 v110, 0x3df6dbef, v45, -v107
	v_add_f32_e32 v68, v108, v103
	v_fmac_f32_e32 v113, 0xbf6f5d39, v86
	v_mul_f32_e32 v57, 0xbf6f5d39, v57
	v_fmamk_f32 v108, v32, 0xbeb58ec6, v105
	v_mul_f32_e32 v109, 0x3f29c268, v69
	v_add_f32_e32 v101, v110, v119
	v_add_f32_e32 v69, v113, v104
	v_fma_f32 v104, 0xbeb58ec6, v30, -v57
	v_mul_f32_e32 v60, 0x3f29c268, v60
	v_add_f32_e32 v108, v108, v5
	v_fmamk_f32 v110, v33, 0xbf3f9e67, v109
	v_mul_f32_e32 v112, 0x3eedf032, v74
	v_add_f32_e32 v74, v104, v4
	v_fma_f32 v104, 0xbf3f9e67, v31, -v60
	v_mul_f32_e32 v113, 0x3eedf032, v73
	v_add_f32_e32 v73, v110, v108
	v_fmamk_f32 v108, v35, 0x3f62ad3f, v112
	v_mul_f32_e32 v81, 0xbf7e222b, v81
	;; [unrolled: 6-line block ×3, first 2 shown]
	v_add_f32_e32 v74, v104, v74
	v_fma_f32 v104, 0x3df6dbef, v36, -v80
	v_fma_f32 v103, 0xbeb58ec6, v45, -v118
	v_add_f32_e32 v73, v108, v73
	v_mul_f32_e32 v108, 0x3df6dbef, v32
	v_mul_f32_e32 v118, 0xbf788fa5, v33
	v_add_f32_e32 v74, v104, v74
	v_fma_f32 v104, 0xbf788fa5, v38, -v83
	v_add_f32_e32 v68, v103, v68
	v_add_f32_e32 v97, v97, v108
	;; [unrolled: 1-line block ×7, first 2 shown]
	v_mul_f32_e32 v98, 0xbeb58ec6, v35
	v_mul_f32_e32 v104, 0x3df6dbef, v30
	v_add_f32_e32 v25, v25, v7
	v_add_f32_e32 v6, v24, v6
	;; [unrolled: 1-line block ×4, first 2 shown]
	v_mul_f32_e32 v97, 0x3f62ad3f, v37
	v_mul_f32_e32 v98, 0xbf788fa5, v31
	v_sub_f32_e32 v87, v104, v87
	v_add_f32_e32 v25, v27, v25
	v_add_f32_e32 v74, v96, v74
	;; [unrolled: 1-line block ×3, first 2 shown]
	v_sub_f32_e32 v93, v98, v93
	v_add_f32_e32 v87, v87, v4
	v_mul_f32_e32 v96, 0xbeb58ec6, v34
	v_mul_f32_e32 v98, 0x3f116cb1, v43
	v_add_f32_e32 v95, v95, v74
	v_add_f32_e32 v21, v21, v25
	;; [unrolled: 1-line block ×3, first 2 shown]
	v_sub_f32_e32 v92, v96, v92
	v_mul_f32_e32 v93, 0x3f62ad3f, v36
	v_add_f32_e32 v94, v94, v98
	v_add_f32_e32 v25, v26, v6
	;; [unrolled: 1-line block ×4, first 2 shown]
	v_sub_f32_e32 v90, v93, v90
	v_add_f32_e32 v92, v94, v95
	v_mul_f32_e32 v93, 0x3f116cb1, v32
	v_mul_f32_e32 v94, 0x3f116cb1, v38
	v_mul_f32_e32 v95, 0xbf3f9e67, v49
	v_add_f32_e32 v87, v90, v87
	v_mul_f32_e32 v90, 0xbeb58ec6, v33
	v_add_f32_e32 v76, v76, v93
	v_sub_f32_e32 v89, v94, v89
	v_mul_f32_e32 v94, 0x3f116cb1, v30
	v_mul_f32_e32 v93, 0xbf3f9e67, v45
	v_add_f32_e32 v78, v78, v90
	v_add_f32_e32 v76, v76, v5
	;; [unrolled: 1-line block ×3, first 2 shown]
	v_mul_f32_e32 v89, 0xbf788fa5, v35
	v_sub_f32_e32 v67, v94, v67
	v_add_f32_e32 v20, v20, v25
	v_add_f32_e32 v76, v78, v76
	;; [unrolled: 1-line block ×5, first 2 shown]
	v_sub_f32_e32 v88, v93, v88
	v_mul_f32_e32 v93, 0x3f62ad3f, v32
	v_add_f32_e32 v17, v17, v21
	v_add_f32_e32 v76, v89, v76
	v_mul_f32_e32 v89, 0xbeb58ec6, v31
	v_add_f32_e32 v20, v22, v20
	v_add_f32_e32 v79, v91, v92
	v_mul_f32_e32 v91, 0x3f116cb1, v33
	v_add_f32_e32 v47, v47, v93
	v_sub_f32_e32 v70, v89, v70
	v_mul_f32_e32 v89, 0xbf788fa5, v34
	v_add_f32_e32 v17, v19, v17
	v_add_f32_e32 v19, v16, v20
	;; [unrolled: 1-line block ×4, first 2 shown]
	v_sub_f32_e32 v70, v89, v71
	v_mul_f32_e32 v89, 0xbf3f9e67, v36
	v_add_f32_e32 v51, v51, v91
	v_add_f32_e32 v13, v13, v17
	;; [unrolled: 1-line block ×4, first 2 shown]
	v_mul_f32_e32 v70, 0x3f62ad3f, v49
	v_sub_f32_e32 v72, v89, v72
	v_fma_f32 v18, 0xbf788fa5, v32, -v111
	v_add_f32_e32 v47, v51, v47
	v_mul_f32_e32 v51, 0x3f62ad3f, v45
	v_add_f32_e32 v70, v82, v70
	v_mul_f32_e32 v82, 0x3df6dbef, v38
	v_add_f32_e32 v67, v72, v67
	v_add_f32_e32 v13, v15, v13
	;; [unrolled: 1-line block ×4, first 2 shown]
	v_sub_f32_e32 v58, v82, v58
	v_fma_f32 v17, 0x3f62ad3f, v33, -v116
	v_mul_f32_e32 v90, 0x3f62ad3f, v30
	v_add_f32_e32 v78, v88, v87
	v_mul_f32_e32 v88, 0xbf3f9e67, v37
	v_add_f32_e32 v24, v58, v67
	v_sub_f32_e32 v27, v51, v59
	v_add_f32_e32 v9, v9, v13
	v_add_f32_e32 v12, v14, v12
	;; [unrolled: 1-line block ×3, first 2 shown]
	v_fma_f32 v14, 0xbf3f9e67, v35, -v117
	v_mul_f32_e32 v87, 0x3f116cb1, v31
	v_add_f32_e32 v75, v75, v88
	v_add_f32_e32 v6, v27, v24
	v_sub_f32_e32 v24, v90, v39
	v_add_f32_e32 v9, v11, v9
	v_add_f32_e32 v8, v8, v12
	;; [unrolled: 1-line block ×3, first 2 shown]
	v_fma_f32 v12, 0x3f116cb1, v37, -v121
	v_fmac_f32_e32 v115, 0xbf788fa5, v30
	v_mul_f32_e32 v88, 0x3df6dbef, v43
	v_add_f32_e32 v75, v75, v76
	v_mul_f32_e32 v76, 0x3df6dbef, v34
	v_add_f32_e32 v24, v24, v4
	v_sub_f32_e32 v21, v87, v44
	v_add_f32_e32 v8, v10, v8
	v_add_f32_e32 v10, v12, v11
	v_fma_f32 v11, 0xbeb58ec6, v43, -v114
	v_add_f32_e32 v12, v115, v4
	v_fmac_f32_e32 v120, 0x3f62ad3f, v31
	v_fma_f32 v13, 0xbeb58ec6, v32, -v105
	v_fmac_f32_e32 v57, 0xbeb58ec6, v30
	v_add_f32_e32 v77, v77, v88
	v_mul_f32_e32 v88, 0x3df6dbef, v35
	v_mul_f32_e32 v71, 0xbeb58ec6, v36
	v_add_f32_e32 v20, v21, v24
	v_sub_f32_e32 v21, v76, v46
	v_add_f32_e32 v10, v11, v10
	v_add_f32_e32 v11, v120, v12
	;; [unrolled: 1-line block ×3, first 2 shown]
	v_fma_f32 v12, 0xbf3f9e67, v33, -v109
	v_add_f32_e32 v4, v57, v4
	v_fmac_f32_e32 v60, 0xbf3f9e67, v31
	v_add_f32_e32 v75, v77, v75
	v_mul_f32_e32 v77, 0xbeb58ec6, v37
	v_add_f32_e32 v50, v50, v88
	v_fmac_f32_e32 v123, 0xbf3f9e67, v34
	v_mul_f32_e32 v89, 0xbf3f9e67, v38
	v_add_f32_e32 v19, v21, v20
	v_sub_f32_e32 v20, v71, v48
	v_add_f32_e32 v5, v12, v5
	v_fma_f32 v12, 0x3f62ad3f, v35, -v112
	v_add_f32_e32 v4, v60, v4
	v_fmac_f32_e32 v113, 0x3f62ad3f, v34
	v_mul_f32_e32 v92, 0xbf3f9e67, v43
	v_add_f32_e32 v47, v50, v47
	v_add_f32_e32 v26, v53, v77
	v_mul_f32_e32 v84, 0x3e750f2a, v84
	v_add_f32_e32 v11, v123, v11
	v_fmac_f32_e32 v126, 0x3f116cb1, v36
	v_mul_f32_e32 v72, 0xbf788fa5, v45
	v_add_f32_e32 v18, v20, v19
	v_sub_f32_e32 v19, v89, v52
	v_add_f32_e32 v5, v12, v5
	v_fma_f32 v12, 0x3df6dbef, v37, -v81
	v_add_f32_e32 v4, v113, v4
	v_fmac_f32_e32 v80, 0x3df6dbef, v36
	v_mul_f32_e32 v82, 0xbf788fa5, v49
	v_add_f32_e32 v23, v26, v47
	v_add_f32_e32 v25, v54, v92
	v_fmamk_f32 v110, v43, 0xbf788fa5, v84
	v_mul_f32_e32 v86, 0x3f52af12, v86
	v_mul_f32_e32 v85, 0x3f52af12, v85
	v_add_f32_e32 v11, v126, v11
	v_fmac_f32_e32 v124, 0xbeb58ec6, v38
	v_add_f32_e32 v15, v19, v18
	v_sub_f32_e32 v17, v72, v55
	v_add_f32_e32 v5, v12, v5
	v_fma_f32 v12, 0xbf788fa5, v43, -v84
	v_add_f32_e32 v4, v80, v4
	v_fmac_f32_e32 v83, 0xbf788fa5, v38
	v_add_f32_e32 v22, v25, v23
	v_add_f32_e32 v23, v56, v82
	v_and_b32_e32 v14, 0xffff, v66
	v_add_f32_e32 v73, v110, v73
	v_fmamk_f32 v104, v49, 0x3f116cb1, v86
	v_fma_f32 v97, 0x3f116cb1, v45, -v85
	v_fma_f32 v13, 0x3df6dbef, v49, -v106
	v_add_f32_e32 v11, v124, v11
	v_fmac_f32_e32 v107, 0x3df6dbef, v45
	v_add_f32_e32 v15, v17, v15
	v_add_f32_e32 v12, v12, v5
	v_fma_f32 v17, 0x3f116cb1, v49, -v86
	v_add_f32_e32 v18, v83, v4
	v_fmac_f32_e32 v85, 0x3f116cb1, v45
	v_add_f32_e32 v16, v23, v22
	v_add_f32_e32 v9, v29, v9
	;; [unrolled: 1-line block ×3, first 2 shown]
	v_add_lshl_u32 v14, v61, v14, 3
	v_add_f32_e32 v7, v70, v75
	v_add_f32_e32 v74, v104, v73
	;; [unrolled: 1-line block ×7, first 2 shown]
	ds_write2_b64 v14, v[8:9], v[15:16] offset1:1
	ds_write2_b64 v14, v[6:7], v[78:79] offset0:2 offset1:3
	ds_write2_b64 v14, v[73:74], v[68:69] offset0:4 offset1:5
	;; [unrolled: 1-line block ×5, first 2 shown]
	ds_write_b64 v14, v[41:42] offset:96
.LBB0_7:
	s_or_b32 exec_lo, exec_lo, s0
	v_add_nc_u32_e32 v4, -13, v64
	v_cmp_gt_u16_e64 s0, 13, v64
	s_load_dwordx4 s[4:7], s[6:7], 0x0
	s_waitcnt lgkmcnt(0)
	s_barrier
	buffer_gl0_inv
	v_cndmask_b32_e64 v36, v4, v64, s0
	v_add_lshl_u32 v67, v61, v64, 3
	v_mul_i32_i24_e32 v4, 0x48, v36
	v_mul_hi_i32_i24_e32 v5, 0x48, v36
	v_add_co_u32 v20, s0, s2, v4
	v_add_co_ci_u32_e64 v21, s0, s3, v5, s0
	v_cmp_lt_u16_e64 s0, 12, v64
	s_clause 0x4
	global_load_dwordx4 v[16:19], v[20:21], off
	global_load_dwordx4 v[12:15], v[20:21], off offset:16
	global_load_dwordx4 v[8:11], v[20:21], off offset:32
	;; [unrolled: 1-line block ×3, first 2 shown]
	global_load_dwordx2 v[43:44], v[20:21], off offset:64
	ds_read2_b64 v[20:23], v67 offset1:26
	ds_read2_b64 v[24:27], v67 offset0:52 offset1:78
	v_cndmask_b32_e64 v37, 0, 0x82, s0
	ds_read2_b64 v[28:31], v67 offset0:104 offset1:130
	ds_read2_b64 v[32:35], v67 offset0:156 offset1:182
	v_add_nc_u32_e32 v45, v36, v37
	ds_read2_b64 v[36:39], v67 offset0:208 offset1:234
	s_waitcnt vmcnt(0) lgkmcnt(0)
	s_barrier
	buffer_gl0_inv
	v_add_lshl_u32 v69, v61, v45, 3
	v_mul_f32_e32 v45, v23, v17
	v_mul_f32_e32 v46, v22, v17
	;; [unrolled: 1-line block ×18, first 2 shown]
	v_fma_f32 v45, v22, v16, -v45
	v_fmac_f32_e32 v46, v23, v16
	v_fma_f32 v22, v24, v18, -v47
	v_fmac_f32_e32 v48, v25, v18
	;; [unrolled: 2-line block ×9, first 2 shown]
	v_add_f32_e32 v30, v20, v22
	v_sub_f32_e32 v34, v22, v24
	v_sub_f32_e32 v35, v28, v26
	v_add_f32_e32 v36, v22, v28
	v_sub_f32_e32 v51, v48, v52
	v_sub_f32_e32 v53, v60, v56
	v_add_f32_e32 v59, v45, v23
	v_add_f32_e32 v68, v25, v27
	;; [unrolled: 1-line block ×4, first 2 shown]
	v_sub_f32_e32 v32, v48, v60
	v_sub_f32_e32 v37, v24, v22
	;; [unrolled: 1-line block ×3, first 2 shown]
	v_add_f32_e32 v39, v21, v48
	v_add_f32_e32 v47, v52, v56
	;; [unrolled: 1-line block ×3, first 2 shown]
	v_sub_f32_e32 v48, v52, v48
	v_sub_f32_e32 v57, v56, v60
	v_add_f32_e32 v75, v23, v29
	v_add_f32_e32 v78, v46, v50
	;; [unrolled: 1-line block ×3, first 2 shown]
	v_sub_f32_e32 v49, v24, v26
	v_sub_f32_e32 v71, v50, v70
	;; [unrolled: 1-line block ×6, first 2 shown]
	v_add_f32_e32 v24, v30, v24
	v_add_f32_e32 v30, v34, v35
	v_fma_f32 v35, -0.5, v36, v20
	v_add_f32_e32 v34, v51, v53
	v_add_f32_e32 v25, v59, v25
	v_fma_f32 v36, -0.5, v68, v45
	v_fma_f32 v51, -0.5, v79, v46
	v_sub_f32_e32 v72, v54, v58
	v_fma_f32 v85, -0.5, v31, v20
	v_add_f32_e32 v20, v37, v38
	v_add_f32_e32 v31, v39, v52
	v_fma_f32 v39, -0.5, v47, v21
	v_fma_f32 v37, -0.5, v55, v21
	v_add_f32_e32 v21, v48, v57
	v_fmac_f32_e32 v45, -0.5, v75
	v_add_f32_e32 v48, v78, v54
	v_fmac_f32_e32 v46, -0.5, v83
	v_sub_f32_e32 v74, v29, v27
	v_sub_f32_e32 v77, v27, v29
	;; [unrolled: 1-line block ×4, first 2 shown]
	v_add_f32_e32 v25, v25, v27
	v_fmamk_f32 v27, v71, 0x3f737871, v36
	v_fmamk_f32 v57, v23, 0xbf737871, v51
	v_sub_f32_e32 v33, v52, v56
	v_sub_f32_e32 v50, v54, v50
	;; [unrolled: 1-line block ×3, first 2 shown]
	v_add_f32_e32 v24, v24, v26
	v_add_f32_e32 v26, v31, v56
	v_fmamk_f32 v31, v72, 0xbf737871, v45
	v_fmac_f32_e32 v45, 0x3f737871, v72
	v_add_f32_e32 v48, v48, v58
	v_fmamk_f32 v58, v80, 0x3f737871, v46
	v_fmac_f32_e32 v46, 0xbf737871, v80
	v_fmac_f32_e32 v36, 0xbf737871, v71
	;; [unrolled: 1-line block ×3, first 2 shown]
	v_sub_f32_e32 v22, v22, v28
	v_add_f32_e32 v38, v73, v74
	v_add_f32_e32 v52, v81, v82
	v_fmac_f32_e32 v27, 0x3f167918, v72
	v_fmac_f32_e32 v57, 0xbf167918, v80
	v_add_f32_e32 v47, v76, v77
	v_add_f32_e32 v50, v50, v84
	v_fmamk_f32 v54, v33, 0xbf737871, v35
	v_fmac_f32_e32 v35, 0x3f737871, v33
	v_fmamk_f32 v56, v49, 0x3f737871, v37
	v_fmac_f32_e32 v37, 0xbf737871, v49
	v_fmac_f32_e32 v31, 0x3f167918, v71
	;; [unrolled: 1-line block ×7, first 2 shown]
	v_fmamk_f32 v53, v32, 0x3f737871, v85
	v_fmamk_f32 v55, v22, 0xbf737871, v39
	v_fmac_f32_e32 v27, 0x3e9e377a, v38
	v_fmac_f32_e32 v57, 0x3e9e377a, v52
	;; [unrolled: 1-line block ×4, first 2 shown]
	v_add_f32_e32 v24, v24, v28
	v_fmac_f32_e32 v54, 0x3f167918, v32
	v_fmac_f32_e32 v35, 0xbf167918, v32
	v_add_f32_e32 v26, v26, v60
	v_fmac_f32_e32 v56, 0xbf167918, v22
	v_fmac_f32_e32 v37, 0x3f167918, v22
	v_add_f32_e32 v22, v25, v29
	v_add_f32_e32 v25, v48, v70
	v_fmac_f32_e32 v31, 0x3e9e377a, v47
	v_fmac_f32_e32 v45, 0x3e9e377a, v47
	;; [unrolled: 1-line block ×8, first 2 shown]
	v_mul_f32_e32 v32, 0x3f167918, v57
	v_mul_f32_e32 v47, 0xbf167918, v27
	v_fmac_f32_e32 v85, 0xbf167918, v33
	v_fmac_f32_e32 v54, 0x3e9e377a, v20
	;; [unrolled: 1-line block ×5, first 2 shown]
	v_add_f32_e32 v20, v24, v22
	v_add_f32_e32 v21, v26, v25
	v_sub_f32_e32 v22, v24, v22
	v_sub_f32_e32 v23, v26, v25
	v_mul_f32_e32 v33, 0x3f737871, v58
	v_mul_f32_e32 v24, 0x3e9e377a, v45
	;; [unrolled: 1-line block ×4, first 2 shown]
	v_fmac_f32_e32 v39, 0x3f167918, v49
	v_mul_f32_e32 v25, 0x3f4f1bbd, v36
	v_mul_f32_e32 v28, 0x3f4f1bbd, v51
	v_fmac_f32_e32 v53, 0x3e9e377a, v30
	v_fmac_f32_e32 v55, 0x3e9e377a, v34
	;; [unrolled: 1-line block ×5, first 2 shown]
	v_fma_f32 v38, 0x3f737871, v46, -v24
	v_fmac_f32_e32 v48, 0x3e9e377a, v58
	v_fma_f32 v45, 0xbf737871, v45, -v26
	v_fmac_f32_e32 v85, 0x3e9e377a, v30
	v_fmac_f32_e32 v39, 0x3e9e377a, v34
	v_fma_f32 v46, 0x3f167918, v51, -v25
	v_fma_f32 v49, 0xbf167918, v36, -v28
	v_add_f32_e32 v24, v53, v32
	v_add_f32_e32 v25, v55, v47
	;; [unrolled: 1-line block ×8, first 2 shown]
	v_sub_f32_e32 v32, v53, v32
	v_sub_f32_e32 v34, v54, v33
	;; [unrolled: 1-line block ×8, first 2 shown]
	ds_write2_b64 v69, v[20:21], v[24:25] offset1:13
	ds_write2_b64 v69, v[26:27], v[28:29] offset0:26 offset1:39
	ds_write2_b64 v69, v[30:31], v[22:23] offset0:52 offset1:65
	;; [unrolled: 1-line block ×4, first 2 shown]
	s_waitcnt lgkmcnt(0)
	s_barrier
	buffer_gl0_inv
	s_clause 0x4
	global_load_dwordx2 v[49:50], v63, s[2:3] offset:936
	global_load_dwordx2 v[53:54], v63, s[2:3] offset:1144
	;; [unrolled: 1-line block ×5, first 2 shown]
	ds_read2_b64 v[24:27], v67 offset0:104 offset1:130
	ds_read2_b64 v[20:23], v67 offset0:156 offset1:182
	;; [unrolled: 1-line block ×3, first 2 shown]
	ds_read2_b64 v[56:59], v67 offset1:26
	ds_read2_b64 v[70:73], v67 offset0:52 offset1:78
	v_lshl_add_u32 v68, v64, 3, v65
	v_add_nc_u32_e32 v55, v63, v65
	s_waitcnt vmcnt(4) lgkmcnt(4)
	v_mul_f32_e32 v32, v27, v50
	v_mul_f32_e32 v33, v26, v50
	s_waitcnt vmcnt(3) lgkmcnt(3)
	v_mul_f32_e32 v34, v21, v54
	v_mul_f32_e32 v35, v20, v54
	s_waitcnt vmcnt(2)
	v_mul_f32_e32 v36, v23, v46
	v_mul_f32_e32 v37, v22, v46
	s_waitcnt vmcnt(1) lgkmcnt(2)
	v_mul_f32_e32 v38, v29, v48
	v_mul_f32_e32 v60, v28, v48
	s_waitcnt vmcnt(0)
	v_mul_f32_e32 v39, v31, v52
	v_mul_f32_e32 v74, v30, v52
	v_fma_f32 v26, v26, v49, -v32
	v_fmac_f32_e32 v33, v27, v49
	v_fma_f32 v20, v20, v53, -v34
	v_fmac_f32_e32 v35, v21, v53
	;; [unrolled: 2-line block ×5, first 2 shown]
	s_waitcnt lgkmcnt(1)
	v_sub_f32_e32 v22, v56, v26
	v_sub_f32_e32 v23, v57, v33
	;; [unrolled: 1-line block ×4, first 2 shown]
	s_waitcnt lgkmcnt(0)
	v_sub_f32_e32 v34, v70, v21
	v_sub_f32_e32 v35, v71, v37
	;; [unrolled: 1-line block ×6, first 2 shown]
	v_fma_f32 v20, v56, 2.0, -v22
	v_fma_f32 v21, v57, 2.0, -v23
	;; [unrolled: 1-line block ×10, first 2 shown]
	ds_write2_b64 v68, v[38:39], v[34:35] offset0:156 offset1:182
	ds_write_b64 v68, v[30:31] offset:1664
	ds_write2_b64 v68, v[20:21], v[36:37] offset1:26
	ds_write2_b64 v68, v[32:33], v[28:29] offset0:52 offset1:78
	ds_write2_b64 v68, v[24:25], v[22:23] offset0:104 offset1:130
	ds_write_b64 v55, v[26:27] offset:1872
	s_waitcnt lgkmcnt(0)
	s_barrier
	buffer_gl0_inv
	s_and_saveexec_b32 s1, vcc_lo
	s_cbranch_execz .LBB0_9
; %bb.8:
	v_add_co_u32 v58, s0, s14, v63
	v_add_co_ci_u32_e64 v59, null, s15, 0, s0
	v_add_co_u32 v56, s0, 0x800, v58
	v_add_co_ci_u32_e64 v57, s0, 0, v59, s0
	v_add_co_u32 v58, s0, 0x820, v58
	v_add_co_ci_u32_e64 v59, s0, 0, v59, s0
	s_clause 0xc
	global_load_dwordx2 v[90:91], v[56:57], off offset:32
	global_load_dwordx2 v[92:93], v[58:59], off offset:160
	;; [unrolled: 1-line block ×13, first 2 shown]
	ds_read2_b64 v[56:59], v68 offset1:20
	ds_read2_b64 v[70:73], v68 offset0:40 offset1:60
	ds_read2_b64 v[74:77], v68 offset0:80 offset1:100
	ds_read2_b64 v[78:81], v68 offset0:120 offset1:140
	ds_read2_b64 v[82:85], v68 offset0:160 offset1:180
	ds_read2_b64 v[86:89], v68 offset0:200 offset1:220
	ds_read_b64 v[116:117], v68 offset:1920
	s_waitcnt vmcnt(12) lgkmcnt(6)
	v_mul_f32_e32 v118, v57, v91
	v_mul_f32_e32 v119, v56, v91
	s_waitcnt vmcnt(11)
	v_mul_f32_e32 v120, v59, v93
	v_mul_f32_e32 v91, v58, v93
	s_waitcnt vmcnt(10) lgkmcnt(5)
	v_mul_f32_e32 v121, v71, v95
	v_mul_f32_e32 v60, v70, v95
	s_waitcnt vmcnt(9)
	v_mul_f32_e32 v122, v73, v97
	v_mul_f32_e32 v93, v72, v97
	;; [unrolled: 6-line block ×6, first 2 shown]
	s_waitcnt vmcnt(0) lgkmcnt(0)
	v_mul_f32_e32 v113, v117, v115
	v_mul_f32_e32 v111, v116, v115
	v_fma_f32 v118, v56, v90, -v118
	v_fmac_f32_e32 v119, v57, v90
	v_fma_f32 v90, v58, v92, -v120
	v_fmac_f32_e32 v91, v59, v92
	;; [unrolled: 2-line block ×13, first 2 shown]
	ds_write2_b64 v68, v[118:119], v[90:91] offset1:20
	ds_write2_b64 v68, v[59:60], v[92:93] offset0:40 offset1:60
	ds_write2_b64 v68, v[94:95], v[96:97] offset0:80 offset1:100
	;; [unrolled: 1-line block ×5, first 2 shown]
	ds_write_b64 v68, v[110:111] offset:1920
.LBB0_9:
	s_or_b32 exec_lo, exec_lo, s1
	s_waitcnt lgkmcnt(0)
	s_barrier
	buffer_gl0_inv
	s_and_saveexec_b32 s0, vcc_lo
	s_cbranch_execz .LBB0_11
; %bb.10:
	ds_read2_b64 v[20:23], v68 offset1:20
	ds_read2_b64 v[36:39], v68 offset0:40 offset1:60
	ds_read2_b64 v[32:35], v68 offset0:80 offset1:100
	ds_read2_b64 v[28:31], v68 offset0:120 offset1:140
	ds_read2_b64 v[24:27], v68 offset0:160 offset1:180
	ds_read2_b64 v[0:3], v68 offset0:200 offset1:220
	ds_read_b64 v[41:42], v68 offset:1920
.LBB0_11:
	s_or_b32 exec_lo, exec_lo, s0
	v_add_nc_u32_e32 v70, 0x340, v55
	s_waitcnt lgkmcnt(0)
	s_barrier
	buffer_gl0_inv
	s_and_saveexec_b32 s0, vcc_lo
	s_cbranch_execz .LBB0_13
; %bb.12:
	v_sub_f32_e32 v75, v22, v41
	v_add_f32_e32 v87, v42, v23
	v_sub_f32_e32 v73, v36, v2
	v_add_f32_e32 v88, v3, v37
	v_sub_f32_e32 v71, v38, v0
	v_mul_f32_e32 v57, 0xbf29c268, v75
	v_add_f32_e32 v89, v1, v39
	v_mul_f32_e32 v58, 0x3f7e222b, v73
	v_sub_f32_e32 v72, v32, v26
	v_mul_f32_e32 v59, 0xbf52af12, v71
	v_fmamk_f32 v55, v87, 0xbf3f9e67, v57
	v_add_f32_e32 v90, v27, v33
	v_fmamk_f32 v56, v88, 0x3df6dbef, v58
	v_sub_f32_e32 v74, v34, v24
	v_sub_f32_e32 v92, v23, v42
	v_add_f32_e32 v55, v21, v55
	v_mul_f32_e32 v60, 0x3e750f2a, v72
	v_fmamk_f32 v76, v89, 0x3f116cb1, v59
	v_add_f32_e32 v91, v25, v35
	v_add_f32_e32 v77, v41, v22
	;; [unrolled: 1-line block ×3, first 2 shown]
	v_sub_f32_e32 v93, v37, v3
	v_mul_f32_e32 v83, 0x3eedf032, v74
	v_mul_f32_e32 v84, 0xbf29c268, v92
	v_fmamk_f32 v56, v90, 0xbf788fa5, v60
	v_add_f32_e32 v55, v76, v55
	v_add_f32_e32 v78, v2, v36
	v_mul_f32_e32 v85, 0x3f7e222b, v93
	v_fmamk_f32 v79, v91, 0x3f62ad3f, v83
	v_fma_f32 v80, 0xbf3f9e67, v77, -v84
	v_add_f32_e32 v55, v56, v55
	v_sub_f32_e32 v94, v39, v1
	v_sub_f32_e32 v76, v28, v30
	v_fma_f32 v56, 0x3df6dbef, v78, -v85
	v_add_f32_e32 v80, v20, v80
	v_add_f32_e32 v55, v79, v55
	;; [unrolled: 1-line block ×3, first 2 shown]
	v_mul_f32_e32 v86, 0xbf52af12, v94
	v_sub_f32_e32 v96, v33, v27
	v_mul_f32_e32 v95, 0xbf6f5d39, v76
	v_add_f32_e32 v97, v31, v29
	v_add_f32_e32 v56, v56, v80
	v_fma_f32 v81, 0x3f116cb1, v79, -v86
	v_add_f32_e32 v80, v26, v32
	v_mul_f32_e32 v98, 0x3e750f2a, v96
	v_fmamk_f32 v82, v97, 0xbeb58ec6, v95
	v_sub_f32_e32 v99, v35, v25
	v_add_f32_e32 v81, v81, v56
	v_mul_f32_e32 v101, 0xbf788fa5, v87
	v_fma_f32 v100, 0xbf788fa5, v80, -v98
	v_add_f32_e32 v56, v82, v55
	v_add_f32_e32 v82, v24, v34
	v_mul_f32_e32 v102, 0x3eedf032, v99
	v_fmamk_f32 v103, v75, 0x3e750f2a, v101
	v_add_f32_e32 v55, v100, v81
	v_sub_f32_e32 v100, v29, v31
	v_mul_f32_e32 v104, 0x3f62ad3f, v88
	v_fma_f32 v105, 0x3f62ad3f, v82, -v102
	v_add_f32_e32 v81, v30, v28
	v_add_f32_e32 v103, v21, v103
	v_mul_f32_e32 v106, 0xbf6f5d39, v100
	v_fmamk_f32 v107, v73, 0xbeedf032, v104
	v_mul_f32_e32 v108, 0xbf3f9e67, v89
	v_add_f32_e32 v55, v105, v55
	v_mul_f32_e32 v109, 0xbe750f2a, v92
	v_fma_f32 v105, 0xbeb58ec6, v81, -v106
	v_add_f32_e32 v103, v107, v103
	v_fmamk_f32 v107, v71, 0x3f29c268, v108
	v_mul_f32_e32 v110, 0x3f116cb1, v90
	v_mul_f32_e32 v111, 0x3eedf032, v93
	v_add_f32_e32 v55, v105, v55
	v_fmamk_f32 v105, v77, 0xbf788fa5, v109
	v_add_f32_e32 v103, v107, v103
	v_fmamk_f32 v107, v72, 0xbf52af12, v110
	v_mul_f32_e32 v112, 0xbeb58ec6, v91
	v_fmamk_f32 v113, v78, 0x3f62ad3f, v111
	v_add_f32_e32 v105, v20, v105
	v_mul_f32_e32 v114, 0xbf29c268, v94
	v_add_f32_e32 v103, v107, v103
	v_fmamk_f32 v107, v74, 0x3f6f5d39, v112
	v_mul_f32_e32 v115, 0x3df6dbef, v97
	v_fma_f32 v57, 0xbf3f9e67, v87, -v57
	v_add_f32_e32 v105, v113, v105
	v_fmamk_f32 v113, v79, 0xbf3f9e67, v114
	v_mul_f32_e32 v116, 0x3f52af12, v96
	v_add_f32_e32 v103, v107, v103
	v_fmamk_f32 v107, v76, 0xbf7e222b, v115
	v_add_f32_e32 v57, v21, v57
	v_fma_f32 v117, 0x3df6dbef, v88, -v58
	v_add_f32_e32 v105, v113, v105
	v_fmamk_f32 v113, v80, 0x3f116cb1, v116
	v_add_f32_e32 v58, v107, v103
	v_mul_f32_e32 v103, 0xbf6f5d39, v99
	v_fmac_f32_e32 v84, 0xbf3f9e67, v77
	v_add_f32_e32 v57, v117, v57
	v_fma_f32 v59, 0x3f116cb1, v89, -v59
	v_add_f32_e32 v105, v113, v105
	v_fmamk_f32 v107, v82, 0xbeb58ec6, v103
	v_mul_f32_e32 v113, 0x3f7e222b, v100
	v_add_f32_e32 v84, v20, v84
	v_fmac_f32_e32 v85, 0x3df6dbef, v78
	v_add_f32_e32 v57, v59, v57
	v_fma_f32 v59, 0xbf788fa5, v90, -v60
	v_add_f32_e32 v60, v107, v105
	v_fmamk_f32 v105, v81, 0x3df6dbef, v113
	v_add_f32_e32 v84, v85, v84
	v_fmac_f32_e32 v86, 0x3f116cb1, v79
	v_add_f32_e32 v59, v59, v57
	v_fma_f32 v83, 0x3f62ad3f, v91, -v83
	v_mul_f32_e32 v107, 0xbeb58ec6, v87
	v_add_f32_e32 v57, v105, v60
	v_add_f32_e32 v60, v86, v84
	v_fmac_f32_e32 v98, 0xbf788fa5, v80
	v_add_f32_e32 v59, v83, v59
	v_fmamk_f32 v83, v75, 0x3f6f5d39, v107
	v_mul_f32_e32 v105, 0xbf3f9e67, v88
	v_fma_f32 v84, 0xbeb58ec6, v97, -v95
	v_add_f32_e32 v85, v98, v60
	v_fmac_f32_e32 v102, 0x3f62ad3f, v82
	v_add_f32_e32 v83, v21, v83
	v_fmamk_f32 v86, v73, 0xbf29c268, v105
	v_mul_f32_e32 v95, 0x3f62ad3f, v89
	v_mul_f32_e32 v98, 0xbf6f5d39, v92
	v_add_f32_e32 v60, v84, v59
	v_add_f32_e32 v59, v102, v85
	;; [unrolled: 1-line block ×3, first 2 shown]
	v_fmamk_f32 v84, v71, 0xbeedf032, v95
	v_mul_f32_e32 v102, 0x3df6dbef, v90
	v_fmamk_f32 v85, v77, 0xbeb58ec6, v98
	v_mul_f32_e32 v117, 0x3f29c268, v93
	v_fmac_f32_e32 v106, 0xbeb58ec6, v81
	v_add_f32_e32 v83, v84, v83
	v_fmamk_f32 v84, v72, 0x3f7e222b, v102
	v_mul_f32_e32 v118, 0xbf788fa5, v91
	v_add_f32_e32 v85, v20, v85
	v_fmamk_f32 v86, v78, 0xbf3f9e67, v117
	v_mul_f32_e32 v119, 0x3eedf032, v94
	v_add_f32_e32 v83, v84, v83
	v_fmamk_f32 v84, v74, 0xbe750f2a, v118
	v_add_f32_e32 v59, v106, v59
	v_add_f32_e32 v85, v86, v85
	v_fmamk_f32 v86, v79, 0x3f62ad3f, v119
	v_mul_f32_e32 v106, 0xbf7e222b, v96
	v_mul_f32_e32 v120, 0x3f116cb1, v97
	;; [unrolled: 1-line block ×3, first 2 shown]
	v_add_f32_e32 v83, v84, v83
	v_add_f32_e32 v84, v86, v85
	v_fmamk_f32 v85, v80, 0x3df6dbef, v106
	v_mul_f32_e32 v122, 0x3e750f2a, v99
	v_fmamk_f32 v86, v76, 0xbf52af12, v120
	v_fmamk_f32 v123, v75, 0x3f7e222b, v121
	v_mul_f32_e32 v124, 0xbf788fa5, v88
	v_add_f32_e32 v85, v85, v84
	v_fmamk_f32 v125, v82, 0xbf788fa5, v122
	v_add_f32_e32 v84, v86, v83
	v_add_f32_e32 v83, v21, v123
	v_fmamk_f32 v86, v73, 0x3e750f2a, v124
	v_mul_f32_e32 v123, 0xbeb58ec6, v89
	v_mul_f32_e32 v126, 0xbf7e222b, v92
	v_add_f32_e32 v85, v125, v85
	v_mul_f32_e32 v125, 0x3f52af12, v100
	v_add_f32_e32 v83, v86, v83
	v_fmamk_f32 v86, v71, 0xbf6f5d39, v123
	v_mul_f32_e32 v127, 0x3f62ad3f, v90
	v_fmamk_f32 v129, v77, 0x3df6dbef, v126
	v_mul_f32_e32 v130, 0xbe750f2a, v93
	v_fmamk_f32 v128, v81, 0x3f116cb1, v125
	v_add_f32_e32 v83, v86, v83
	v_fmamk_f32 v86, v72, 0xbeedf032, v127
	v_mul_f32_e32 v131, 0x3f116cb1, v91
	v_add_f32_e32 v129, v20, v129
	v_fmamk_f32 v132, v78, 0xbf788fa5, v130
	v_mul_f32_e32 v133, 0x3f6f5d39, v94
	v_add_f32_e32 v86, v86, v83
	v_fmamk_f32 v134, v74, 0x3f52af12, v131
	v_add_f32_e32 v83, v128, v85
	v_add_f32_e32 v85, v132, v129
	v_mul_f32_e32 v132, 0x3f116cb1, v87
	v_fmamk_f32 v128, v79, 0xbeb58ec6, v133
	v_mul_f32_e32 v129, 0x3eedf032, v96
	v_add_f32_e32 v86, v134, v86
	v_mul_f32_e32 v134, 0xbf3f9e67, v97
	v_fmamk_f32 v136, v75, 0x3f52af12, v132
	v_mul_f32_e32 v137, 0xbeb58ec6, v88
	v_add_f32_e32 v85, v128, v85
	v_fmamk_f32 v128, v80, 0x3f62ad3f, v129
	v_mul_f32_e32 v135, 0xbf52af12, v99
	v_fmamk_f32 v138, v76, 0x3f29c268, v134
	v_add_f32_e32 v136, v21, v136
	v_fmamk_f32 v139, v73, 0x3f6f5d39, v137
	v_mul_f32_e32 v140, 0xbf788fa5, v89
	v_add_f32_e32 v85, v128, v85
	v_fmamk_f32 v128, v82, 0x3f116cb1, v135
	v_add_f32_e32 v86, v138, v86
	v_add_f32_e32 v136, v139, v136
	v_fmamk_f32 v138, v71, 0x3e750f2a, v140
	v_mul_f32_e32 v139, 0xbf3f9e67, v90
	v_add_f32_e32 v85, v128, v85
	v_mul_f32_e32 v128, 0xbf52af12, v92
	v_mul_f32_e32 v144, 0x3df6dbef, v91
	v_add_f32_e32 v136, v138, v136
	v_fmamk_f32 v138, v72, 0xbf29c268, v139
	v_mul_f32_e32 v143, 0xbf6f5d39, v93
	v_fmamk_f32 v142, v77, 0x3f116cb1, v128
	v_mul_f32_e32 v141, 0xbf29c268, v100
	v_mul_f32_e32 v146, 0xbe750f2a, v94
	v_add_f32_e32 v136, v138, v136
	v_fmamk_f32 v138, v74, 0xbf7e222b, v144
	v_add_f32_e32 v142, v20, v142
	v_fmamk_f32 v145, v78, 0xbeb58ec6, v143
	;; [unrolled: 2-line block ×3, first 2 shown]
	v_add_f32_e32 v136, v138, v136
	v_mul_f32_e32 v138, 0x3f62ad3f, v87
	v_add_f32_e32 v142, v145, v142
	v_fmamk_f32 v145, v79, 0xbf788fa5, v146
	v_mul_f32_e32 v148, 0x3f29c268, v96
	v_mul_f32_e32 v150, 0x3f116cb1, v88
	v_fmamk_f32 v149, v75, 0x3eedf032, v138
	v_add_f32_e32 v23, v37, v23
	v_add_f32_e32 v22, v22, v20
	;; [unrolled: 1-line block ×4, first 2 shown]
	v_fmamk_f32 v142, v80, 0xbf3f9e67, v148
	v_mul_f32_e32 v145, 0x3f7e222b, v99
	v_mul_f32_e32 v147, 0x3f62ad3f, v97
	v_add_f32_e32 v149, v21, v149
	v_fmamk_f32 v151, v73, 0x3f52af12, v150
	v_mul_f32_e32 v89, 0x3df6dbef, v89
	v_add_f32_e32 v23, v39, v23
	v_add_f32_e32 v22, v36, v22
	;; [unrolled: 1-line block ×3, first 2 shown]
	v_fmamk_f32 v88, v82, 0x3df6dbef, v145
	v_fmamk_f32 v152, v76, 0xbeedf032, v147
	v_add_f32_e32 v149, v151, v149
	v_fmamk_f32 v151, v71, 0x3f7e222b, v89
	v_mul_f32_e32 v90, 0xbeb58ec6, v90
	v_add_f32_e32 v23, v33, v23
	v_add_f32_e32 v22, v38, v22
	;; [unrolled: 1-line block ×5, first 2 shown]
	v_fmamk_f32 v149, v72, 0x3f6f5d39, v90
	v_mul_f32_e32 v37, 0xbf3f9e67, v91
	v_mul_f32_e32 v91, 0xbeedf032, v92
	v_add_f32_e32 v23, v35, v23
	v_add_f32_e32 v22, v32, v22
	;; [unrolled: 1-line block ×3, first 2 shown]
	v_fmamk_f32 v36, v74, 0x3f29c268, v37
	v_fmamk_f32 v39, v77, 0x3f62ad3f, v91
	v_mul_f32_e32 v93, 0xbf52af12, v93
	v_add_f32_e32 v23, v29, v23
	v_add_f32_e32 v22, v34, v22
	;; [unrolled: 1-line block ×4, first 2 shown]
	v_fmamk_f32 v38, v78, 0x3f116cb1, v93
	v_mul_f32_e32 v32, 0xbf7e222b, v94
	v_add_f32_e32 v31, v31, v23
	v_add_f32_e32 v22, v28, v22
	v_mul_f32_e32 v34, 0xbf6f5d39, v96
	v_add_f32_e32 v36, v38, v36
	v_fmamk_f32 v29, v79, 0x3df6dbef, v32
	v_add_f32_e32 v25, v25, v31
	v_add_f32_e32 v22, v30, v22
	v_fmac_f32_e32 v101, 0xbe750f2a, v75
	v_fmac_f32_e32 v104, 0x3eedf032, v73
	v_add_f32_e32 v28, v29, v36
	v_fmamk_f32 v29, v80, 0xbeb58ec6, v34
	v_add_f32_e32 v25, v27, v25
	v_add_f32_e32 v22, v24, v22
	;; [unrolled: 1-line block ×3, first 2 shown]
	v_fmac_f32_e32 v108, 0xbf29c268, v71
	v_add_f32_e32 v28, v29, v28
	v_mul_f32_e32 v29, 0xbf29c268, v99
	v_add_f32_e32 v1, v1, v25
	v_add_f32_e32 v22, v26, v22
	;; [unrolled: 1-line block ×3, first 2 shown]
	v_mul_f32_e32 v30, 0xbe750f2a, v100
	v_fmamk_f32 v27, v82, 0xbf3f9e67, v29
	v_add_f32_e32 v1, v3, v1
	v_add_f32_e32 v0, v0, v22
	;; [unrolled: 1-line block ×3, first 2 shown]
	v_fmac_f32_e32 v110, 0x3f52af12, v72
	v_fma_f32 v24, 0xbf788fa5, v77, -v109
	v_add_f32_e32 v25, v27, v28
	v_fmamk_f32 v26, v81, 0xbf788fa5, v30
	v_add_f32_e32 v0, v2, v0
	v_add_f32_e32 v2, v110, v3
	v_fmac_f32_e32 v112, 0xbf6f5d39, v74
	v_add_f32_e32 v3, v20, v24
	v_fma_f32 v24, 0x3f62ad3f, v78, -v111
	v_fmac_f32_e32 v107, 0xbf6f5d39, v75
	v_add_f32_e32 v22, v26, v25
	v_add_f32_e32 v2, v112, v2
	v_fmac_f32_e32 v115, 0x3f7e222b, v76
	v_add_f32_e32 v24, v24, v3
	v_fma_f32 v25, 0xbf3f9e67, v79, -v114
	v_add_f32_e32 v26, v21, v107
	v_fmac_f32_e32 v105, 0x3f29c268, v73
	v_add_f32_e32 v3, v115, v2
	v_fma_f32 v2, 0xbeb58ec6, v77, -v98
	v_add_f32_e32 v24, v25, v24
	v_fma_f32 v25, 0x3f116cb1, v80, -v116
	v_add_f32_e32 v26, v105, v26
	v_fmac_f32_e32 v95, 0x3eedf032, v71
	v_add_f32_e32 v2, v20, v2
	v_fma_f32 v27, 0xbf3f9e67, v78, -v117
	v_add_f32_e32 v24, v25, v24
	v_fma_f32 v25, 0xbeb58ec6, v82, -v103
	v_add_f32_e32 v26, v95, v26
	v_fmac_f32_e32 v102, 0xbf7e222b, v72
	v_add_f32_e32 v2, v27, v2
	v_fma_f32 v27, 0x3f62ad3f, v79, -v119
	v_add_f32_e32 v24, v25, v24
	v_fma_f32 v25, 0x3df6dbef, v81, -v113
	v_add_f32_e32 v26, v102, v26
	v_fmac_f32_e32 v118, 0x3e750f2a, v74
	v_mul_f32_e32 v35, 0xbf788fa5, v97
	v_add_f32_e32 v27, v27, v2
	v_fma_f32 v28, 0x3df6dbef, v80, -v106
	v_add_f32_e32 v2, v25, v24
	v_fmac_f32_e32 v121, 0xbf7e222b, v75
	v_add_f32_e32 v24, v118, v26
	v_fmac_f32_e32 v120, 0x3f52af12, v76
	v_fmamk_f32 v38, v76, 0x3e750f2a, v35
	v_add_f32_e32 v26, v28, v27
	v_fma_f32 v27, 0xbf788fa5, v82, -v122
	v_add_f32_e32 v28, v21, v121
	v_fmac_f32_e32 v124, 0xbe750f2a, v73
	v_add_f32_e32 v25, v120, v24
	v_fma_f32 v24, 0x3df6dbef, v77, -v126
	v_add_f32_e32 v23, v38, v33
	v_add_f32_e32 v26, v27, v26
	v_fma_f32 v27, 0x3f116cb1, v81, -v125
	v_add_f32_e32 v28, v124, v28
	v_fmac_f32_e32 v123, 0x3f6f5d39, v71
	v_add_f32_e32 v31, v20, v24
	v_fma_f32 v33, 0xbf788fa5, v78, -v130
	v_fmac_f32_e32 v132, 0xbf52af12, v75
	v_add_f32_e32 v24, v27, v26
	v_add_f32_e32 v26, v123, v28
	v_fmac_f32_e32 v127, 0x3eedf032, v72
	v_add_f32_e32 v27, v33, v31
	v_fma_f32 v28, 0xbeb58ec6, v79, -v133
	v_add_f32_e32 v31, v21, v132
	v_fmac_f32_e32 v137, 0xbf6f5d39, v73
	v_add_f32_e32 v26, v127, v26
	v_fmac_f32_e32 v131, 0xbf52af12, v74
	v_add_f32_e32 v27, v28, v27
	v_fma_f32 v28, 0x3f62ad3f, v80, -v129
	v_add_f32_e32 v31, v137, v31
	v_fmac_f32_e32 v140, 0xbe750f2a, v71
	;; [unrolled: 6-line block ×3, first 2 shown]
	v_add_f32_e32 v27, v134, v26
	v_fma_f32 v26, 0x3f116cb1, v77, -v128
	v_add_f32_e32 v28, v33, v28
	v_fma_f32 v33, 0xbf3f9e67, v81, -v141
	v_add_f32_e32 v31, v139, v31
	v_fmac_f32_e32 v144, 0x3f7e222b, v74
	v_add_f32_e32 v36, v20, v26
	v_fma_f32 v38, 0xbeb58ec6, v78, -v143
	v_add_f32_e32 v26, v33, v28
	v_fmac_f32_e32 v138, 0xbeedf032, v75
	v_add_f32_e32 v28, v144, v31
	v_fma_f32 v31, 0x3f62ad3f, v77, -v91
	v_add_f32_e32 v33, v38, v36
	v_fma_f32 v36, 0xbf788fa5, v79, -v146
	v_add_f32_e32 v21, v21, v138
	v_fmac_f32_e32 v150, 0xbf52af12, v73
	v_add_f32_e32 v20, v20, v31
	v_fma_f32 v31, 0x3f116cb1, v78, -v93
	;; [unrolled: 6-line block ×4, first 2 shown]
	v_mul_f32_e32 v142, 0x3eedf032, v100
	v_add_f32_e32 v32, v33, v32
	v_add_f32_e32 v21, v90, v21
	v_fmac_f32_e32 v37, 0xbf29c268, v74
	v_add_f32_e32 v20, v31, v20
	v_fma_f32 v29, 0xbf3f9e67, v82, -v29
	v_and_b32_e32 v33, 0xffff, v66
	v_fmamk_f32 v153, v81, 0x3f62ad3f, v142
	v_add_f32_e32 v1, v42, v1
	v_add_f32_e32 v0, v41, v0
	v_fmac_f32_e32 v147, 0x3eedf032, v76
	v_fma_f32 v31, 0x3f62ad3f, v81, -v142
	v_add_f32_e32 v34, v37, v21
	v_fmac_f32_e32 v35, 0xbe750f2a, v76
	v_add_f32_e32 v36, v29, v20
	v_fma_f32 v30, 0xbf788fa5, v81, -v30
	v_lshl_add_u32 v33, v33, 3, v65
	v_add_f32_e32 v87, v153, v87
	v_add_f32_e32 v21, v147, v28
	;; [unrolled: 1-line block ×5, first 2 shown]
	ds_write2_b64 v33, v[0:1], v[22:23] offset1:1
	ds_write2_b64 v33, v[87:88], v[85:86] offset0:2 offset1:3
	ds_write2_b64 v33, v[83:84], v[59:60] offset0:4 offset1:5
	;; [unrolled: 1-line block ×5, first 2 shown]
	ds_write_b64 v33, v[28:29] offset:96
.LBB0_13:
	s_or_b32 exec_lo, exec_lo, s0
	s_waitcnt lgkmcnt(0)
	s_barrier
	buffer_gl0_inv
	ds_read2_b64 v[0:3], v67 offset1:26
	ds_read2_b64 v[20:23], v67 offset0:52 offset1:78
	ds_read2_b64 v[24:27], v67 offset0:104 offset1:130
	;; [unrolled: 1-line block ×4, first 2 shown]
	s_waitcnt lgkmcnt(0)
	s_barrier
	buffer_gl0_inv
	v_mul_f32_e32 v36, v17, v3
	v_mul_f32_e32 v38, v13, v23
	;; [unrolled: 1-line block ×8, first 2 shown]
	v_fmac_f32_e32 v38, v12, v22
	v_fma_f32 v12, v12, v23, -v13
	v_fmac_f32_e32 v39, v14, v24
	v_fma_f32 v13, v14, v25, -v15
	v_mul_f32_e32 v14, v11, v29
	v_mul_f32_e32 v17, v17, v2
	v_mul_f32_e32 v19, v19, v20
	v_fmac_f32_e32 v37, v18, v20
	v_fmac_f32_e32 v41, v8, v26
	v_mul_f32_e32 v11, v11, v28
	v_fma_f32 v8, v8, v27, -v9
	v_fmac_f32_e32 v14, v10, v28
	v_mul_f32_e32 v9, v7, v32
	v_mul_f32_e32 v7, v7, v33
	v_fmac_f32_e32 v36, v16, v2
	v_fma_f32 v3, v16, v3, -v17
	v_fma_f32 v2, v18, v21, -v19
	v_mul_f32_e32 v15, v5, v31
	v_fma_f32 v10, v10, v29, -v11
	v_mul_f32_e32 v5, v5, v30
	v_add_f32_e32 v11, v39, v14
	v_fma_f32 v9, v6, v33, -v9
	v_add_f32_e32 v17, v0, v37
	v_fmac_f32_e32 v7, v6, v32
	v_fmac_f32_e32 v15, v4, v30
	v_fma_f32 v11, -0.5, v11, v0
	v_sub_f32_e32 v18, v2, v9
	v_fma_f32 v4, v4, v31, -v5
	v_add_f32_e32 v5, v17, v39
	v_sub_f32_e32 v19, v37, v39
	v_sub_f32_e32 v20, v7, v14
	v_add_f32_e32 v21, v37, v7
	v_fmamk_f32 v17, v18, 0xbf737871, v11
	v_sub_f32_e32 v6, v13, v10
	v_mul_f32_e32 v22, v44, v34
	v_add_f32_e32 v5, v5, v14
	v_add_f32_e32 v19, v19, v20
	v_fma_f32 v20, -0.5, v21, v0
	v_fmac_f32_e32 v11, 0x3f737871, v18
	v_add_f32_e32 v24, v1, v2
	v_fmac_f32_e32 v17, 0xbf167918, v6
	v_fma_f32 v0, v43, v35, -v22
	v_add_f32_e32 v21, v5, v7
	v_fmamk_f32 v22, v6, 0x3f737871, v20
	v_sub_f32_e32 v5, v39, v37
	v_sub_f32_e32 v23, v14, v7
	v_fmac_f32_e32 v11, 0x3f167918, v6
	v_add_f32_e32 v25, v13, v10
	v_fmac_f32_e32 v20, 0xbf737871, v6
	v_add_f32_e32 v6, v24, v13
	;; [unrolled: 2-line block ×3, first 2 shown]
	v_fma_f32 v23, -0.5, v25, v1
	v_sub_f32_e32 v7, v37, v7
	v_fmac_f32_e32 v20, 0x3f167918, v18
	v_add_f32_e32 v6, v6, v10
	v_add_f32_e32 v18, v2, v9
	v_mul_f32_e32 v16, v44, v35
	v_fmac_f32_e32 v17, 0x3e9e377a, v19
	v_fmac_f32_e32 v11, 0x3e9e377a, v19
	;; [unrolled: 1-line block ×3, first 2 shown]
	v_fmamk_f32 v19, v7, 0x3f737871, v23
	v_sub_f32_e32 v14, v39, v14
	v_sub_f32_e32 v24, v2, v13
	v_sub_f32_e32 v25, v9, v10
	v_fmac_f32_e32 v20, 0x3e9e377a, v5
	v_fma_f32 v26, -0.5, v18, v1
	v_add_f32_e32 v27, v6, v9
	v_fmac_f32_e32 v23, 0xbf737871, v7
	v_sub_f32_e32 v2, v13, v2
	v_sub_f32_e32 v5, v10, v9
	v_add_f32_e32 v6, v36, v38
	v_fmac_f32_e32 v16, v43, v34
	v_fmac_f32_e32 v19, 0x3f167918, v14
	v_add_f32_e32 v1, v24, v25
	v_fmamk_f32 v24, v14, 0xbf737871, v26
	v_fmac_f32_e32 v23, 0xbf167918, v14
	v_add_f32_e32 v2, v2, v5
	v_fmac_f32_e32 v26, 0x3f737871, v14
	v_add_f32_e32 v5, v6, v41
	v_add_f32_e32 v6, v41, v15
	v_fmac_f32_e32 v19, 0x3e9e377a, v1
	v_fmac_f32_e32 v24, 0x3f167918, v7
	;; [unrolled: 1-line block ×4, first 2 shown]
	v_add_f32_e32 v1, v5, v15
	v_fma_f32 v5, -0.5, v6, v36
	v_add_f32_e32 v6, v38, v16
	v_sub_f32_e32 v7, v12, v0
	v_fmac_f32_e32 v24, 0x3e9e377a, v2
	v_fmac_f32_e32 v26, 0x3e9e377a, v2
	v_add_f32_e32 v10, v1, v16
	v_sub_f32_e32 v1, v8, v4
	v_fmac_f32_e32 v36, -0.5, v6
	v_fmamk_f32 v9, v7, 0xbf737871, v5
	v_sub_f32_e32 v2, v38, v41
	v_sub_f32_e32 v6, v16, v15
	v_fmac_f32_e32 v5, 0x3f737871, v7
	v_fmamk_f32 v13, v1, 0x3f737871, v36
	v_fmac_f32_e32 v9, 0xbf167918, v1
	v_sub_f32_e32 v14, v41, v38
	v_add_f32_e32 v2, v2, v6
	v_fmac_f32_e32 v5, 0x3f167918, v1
	v_sub_f32_e32 v18, v15, v16
	v_fmac_f32_e32 v36, 0xbf737871, v1
	v_add_f32_e32 v1, v8, v4
	v_fmac_f32_e32 v9, 0x3e9e377a, v2
	v_fmac_f32_e32 v5, 0x3e9e377a, v2
	v_add_f32_e32 v2, v12, v0
	v_fmac_f32_e32 v13, 0xbf167918, v7
	v_add_f32_e32 v6, v14, v18
	v_fmac_f32_e32 v36, 0x3f167918, v7
	v_fma_f32 v1, -0.5, v1, v3
	v_sub_f32_e32 v7, v38, v16
	v_add_f32_e32 v14, v3, v12
	v_sub_f32_e32 v15, v41, v15
	v_fmac_f32_e32 v3, -0.5, v2
	v_fmac_f32_e32 v13, 0x3e9e377a, v6
	v_fmac_f32_e32 v36, 0x3e9e377a, v6
	v_fmamk_f32 v16, v7, 0x3f737871, v1
	v_sub_f32_e32 v2, v12, v8
	v_sub_f32_e32 v6, v0, v4
	v_fmamk_f32 v18, v15, 0xbf737871, v3
	v_sub_f32_e32 v12, v8, v12
	v_sub_f32_e32 v25, v4, v0
	v_fmac_f32_e32 v3, 0x3f737871, v15
	v_fmac_f32_e32 v1, 0xbf737871, v7
	;; [unrolled: 1-line block ×3, first 2 shown]
	v_add_f32_e32 v2, v2, v6
	v_fmac_f32_e32 v18, 0x3f167918, v7
	v_add_f32_e32 v6, v12, v25
	v_fmac_f32_e32 v3, 0xbf167918, v7
	v_fmac_f32_e32 v1, 0xbf167918, v15
	v_add_f32_e32 v7, v14, v8
	v_fmac_f32_e32 v16, 0x3e9e377a, v2
	v_fmac_f32_e32 v18, 0x3e9e377a, v6
	;; [unrolled: 1-line block ×4, first 2 shown]
	v_add_f32_e32 v4, v7, v4
	v_mul_f32_e32 v12, 0xbf167918, v16
	v_mul_f32_e32 v29, 0x3f4f1bbd, v16
	;; [unrolled: 1-line block ×8, first 2 shown]
	v_add_f32_e32 v25, v4, v0
	v_fmac_f32_e32 v12, 0x3f4f1bbd, v9
	v_fmac_f32_e32 v29, 0x3f167918, v9
	;; [unrolled: 1-line block ×8, first 2 shown]
	v_add_f32_e32 v0, v21, v10
	v_add_f32_e32 v2, v17, v12
	;; [unrolled: 1-line block ×10, first 2 shown]
	v_sub_f32_e32 v10, v21, v10
	v_sub_f32_e32 v18, v11, v28
	;; [unrolled: 1-line block ×10, first 2 shown]
	ds_write2_b64 v69, v[0:1], v[2:3] offset1:13
	ds_write2_b64 v69, v[4:5], v[6:7] offset0:26 offset1:39
	ds_write2_b64 v69, v[8:9], v[10:11] offset0:52 offset1:65
	ds_write2_b64 v69, v[12:13], v[14:15] offset0:78 offset1:91
	ds_write2_b64 v69, v[16:17], v[18:19] offset0:104 offset1:117
	s_waitcnt lgkmcnt(0)
	s_barrier
	buffer_gl0_inv
	ds_read2_b64 v[0:3], v67 offset0:104 offset1:130
	ds_read2_b64 v[4:7], v67 offset0:156 offset1:182
	;; [unrolled: 1-line block ×3, first 2 shown]
	ds_read2_b64 v[12:15], v67 offset1:26
	ds_read2_b64 v[16:19], v67 offset0:52 offset1:78
	s_waitcnt lgkmcnt(4)
	v_mul_f32_e32 v20, v50, v3
	v_mul_f32_e32 v21, v50, v2
	s_waitcnt lgkmcnt(3)
	v_mul_f32_e32 v22, v54, v5
	v_mul_f32_e32 v23, v54, v4
	;; [unrolled: 1-line block ×3, first 2 shown]
	v_fmac_f32_e32 v20, v49, v2
	v_fma_f32 v3, v49, v3, -v21
	v_fmac_f32_e32 v22, v53, v4
	v_fma_f32 v5, v53, v5, -v23
	v_mul_f32_e32 v2, v46, v6
	s_waitcnt lgkmcnt(2)
	v_mul_f32_e32 v21, v48, v9
	v_mul_f32_e32 v4, v48, v8
	v_fmac_f32_e32 v24, v45, v6
	v_mul_f32_e32 v23, v52, v11
	v_mul_f32_e32 v6, v52, v10
	v_fma_f32 v25, v45, v7, -v2
	v_fmac_f32_e32 v21, v47, v8
	v_fma_f32 v26, v47, v9, -v4
	s_waitcnt lgkmcnt(1)
	v_sub_f32_e32 v4, v14, v22
	v_sub_f32_e32 v5, v15, v5
	v_fmac_f32_e32 v23, v51, v10
	v_fma_f32 v27, v51, v11, -v6
	v_sub_f32_e32 v2, v12, v20
	v_sub_f32_e32 v3, v13, v3
	s_waitcnt lgkmcnt(0)
	v_sub_f32_e32 v8, v16, v24
	v_fma_f32 v10, v14, 2.0, -v4
	v_fma_f32 v11, v15, 2.0, -v5
	v_sub_f32_e32 v9, v17, v25
	v_sub_f32_e32 v14, v18, v21
	;; [unrolled: 1-line block ×5, first 2 shown]
	v_fma_f32 v6, v12, 2.0, -v2
	v_fma_f32 v7, v13, 2.0, -v3
	v_fma_f32 v12, v16, 2.0, -v8
	v_fma_f32 v13, v17, 2.0, -v9
	v_fma_f32 v16, v18, 2.0, -v14
	v_fma_f32 v17, v19, 2.0, -v15
	v_fma_f32 v0, v0, 2.0, -v20
	v_fma_f32 v1, v1, 2.0, -v21
	ds_write2_b64 v68, v[6:7], v[10:11] offset1:26
	ds_write2_b64 v68, v[4:5], v[8:9] offset0:156 offset1:182
	ds_write2_b64 v68, v[12:13], v[16:17] offset0:52 offset1:78
	ds_write_b64 v68, v[14:15] offset:1664
	ds_write2_b64 v68, v[0:1], v[2:3] offset0:104 offset1:130
	ds_write_b64 v70, v[20:21] offset:1040
	s_waitcnt lgkmcnt(0)
	s_barrier
	buffer_gl0_inv
	s_and_b32 exec_lo, exec_lo, vcc_lo
	s_cbranch_execz .LBB0_15
; %bb.14:
	s_clause 0xc
	global_load_dwordx2 v[24:25], v63, s[14:15]
	global_load_dwordx2 v[26:27], v63, s[14:15] offset:160
	global_load_dwordx2 v[28:29], v63, s[14:15] offset:320
	;; [unrolled: 1-line block ×12, first 2 shown]
	v_mad_u64_u32 v[0:1], null, s6, v40, 0
	v_mad_u64_u32 v[2:3], null, s4, v64, 0
	s_mul_i32 s0, s5, 0xa0
	s_mul_hi_u32 s1, s4, 0xa0
	s_mul_i32 s2, s4, 0xa0
	s_add_i32 s3, s1, s0
	v_mad_u64_u32 v[71:72], null, s4, v62, 0
	v_mad_u64_u32 v[4:5], null, s7, v40, v[1:2]
	v_lshl_add_u32 v20, v61, 3, v63
	s_mov_b32 s0, 0x1f81f820
	s_mov_b32 s1, 0x3f6f81f8
	v_mad_u64_u32 v[5:6], null, s5, v64, v[3:4]
	v_mov_b32_e32 v1, v4
	v_mov_b32_e32 v4, v72
	v_lshlrev_b64 v[0:1], 3, v[0:1]
	v_mov_b32_e32 v3, v5
	v_mad_u64_u32 v[12:13], null, s5, v62, v[4:5]
	v_lshlrev_b64 v[2:3], 3, v[2:3]
	v_add_co_u32 v77, vcc_lo, s12, v0
	v_add_co_ci_u32_e32 v78, vcc_lo, s13, v1, vcc_lo
	v_mov_b32_e32 v72, v12
	v_add_co_u32 v51, vcc_lo, v77, v2
	v_add_co_ci_u32_e32 v52, vcc_lo, v78, v3, vcc_lo
	ds_read_b64 v[75:76], v68
	ds_read2_b64 v[0:3], v20 offset0:20 offset1:40
	v_add_co_u32 v53, vcc_lo, v51, s2
	v_add_co_ci_u32_e32 v54, vcc_lo, s3, v52, vcc_lo
	ds_read2_b64 v[4:7], v20 offset0:60 offset1:80
	v_add_co_u32 v55, vcc_lo, v53, s2
	v_add_co_ci_u32_e32 v56, vcc_lo, s3, v54, vcc_lo
	v_add_co_u32 v57, vcc_lo, v55, s2
	v_add_co_ci_u32_e32 v58, vcc_lo, s3, v56, vcc_lo
	;; [unrolled: 2-line block ×6, first 2 shown]
	v_mad_u64_u32 v[73:74], null, 0x140, s4, v[69:70]
	v_mov_b32_e32 v8, v74
	v_mad_u64_u32 v[61:62], null, 0x140, s5, v[8:9]
	ds_read2_b64 v[8:11], v20 offset0:100 offset1:120
	ds_read2_b64 v[12:15], v20 offset0:140 offset1:160
	;; [unrolled: 1-line block ×4, first 2 shown]
	v_mov_b32_e32 v74, v61
	v_lshlrev_b64 v[61:62], 3, v[71:72]
	v_add_co_u32 v71, vcc_lo, v73, s2
	v_add_co_ci_u32_e32 v72, vcc_lo, s3, v74, vcc_lo
	s_waitcnt vmcnt(12) lgkmcnt(6)
	v_mul_f32_e32 v40, v76, v25
	v_mul_f32_e32 v25, v75, v25
	s_waitcnt vmcnt(11) lgkmcnt(5)
	v_mul_f32_e32 v63, v1, v27
	v_mul_f32_e32 v27, v0, v27
	s_waitcnt vmcnt(10)
	v_mul_f32_e32 v68, v3, v29
	v_mul_f32_e32 v29, v2, v29
	s_waitcnt vmcnt(9) lgkmcnt(4)
	v_mul_f32_e32 v79, v5, v31
	v_mul_f32_e32 v31, v4, v31
	s_waitcnt vmcnt(8)
	v_mul_f32_e32 v80, v7, v33
	v_mul_f32_e32 v33, v6, v33
	s_waitcnt vmcnt(7) lgkmcnt(3)
	v_mul_f32_e32 v81, v9, v35
	v_mul_f32_e32 v35, v8, v35
	v_fmac_f32_e32 v40, v75, v24
	v_fma_f32 v24, v24, v76, -v25
	s_waitcnt vmcnt(6)
	v_mul_f32_e32 v82, v11, v37
	v_mul_f32_e32 v37, v10, v37
	v_fmac_f32_e32 v63, v0, v26
	v_fma_f32 v25, v26, v1, -v27
	s_waitcnt vmcnt(5) lgkmcnt(2)
	v_mul_f32_e32 v83, v13, v39
	v_mul_f32_e32 v39, v12, v39
	v_fmac_f32_e32 v68, v2, v28
	v_fma_f32 v26, v28, v3, -v29
	s_waitcnt vmcnt(4)
	v_mul_f32_e32 v84, v15, v42
	v_mul_f32_e32 v42, v14, v42
	v_fmac_f32_e32 v79, v4, v30
	v_fma_f32 v27, v30, v5, -v31
	s_waitcnt vmcnt(3) lgkmcnt(1)
	v_mul_f32_e32 v85, v17, v44
	v_mul_f32_e32 v44, v16, v44
	s_waitcnt vmcnt(2)
	v_mul_f32_e32 v86, v19, v46
	v_mul_f32_e32 v46, v18, v46
	v_fmac_f32_e32 v80, v6, v32
	v_fma_f32 v28, v32, v7, -v33
	s_waitcnt vmcnt(1) lgkmcnt(0)
	v_mul_f32_e32 v87, v21, v48
	v_mul_f32_e32 v48, v20, v48
	s_waitcnt vmcnt(0)
	v_mul_f32_e32 v88, v23, v50
	v_mul_f32_e32 v50, v22, v50
	v_fmac_f32_e32 v81, v8, v34
	v_fma_f32 v29, v34, v9, -v35
	v_cvt_f64_f32_e32 v[0:1], v40
	v_cvt_f64_f32_e32 v[2:3], v24
	v_fmac_f32_e32 v82, v10, v36
	v_fma_f32 v30, v36, v11, -v37
	v_cvt_f64_f32_e32 v[4:5], v63
	v_cvt_f64_f32_e32 v[6:7], v25
	v_fmac_f32_e32 v83, v12, v38
	v_fma_f32 v31, v38, v13, -v39
	v_cvt_f64_f32_e32 v[8:9], v68
	v_cvt_f64_f32_e32 v[10:11], v26
	v_fmac_f32_e32 v84, v14, v41
	v_fma_f32 v34, v41, v15, -v42
	v_cvt_f64_f32_e32 v[12:13], v79
	v_cvt_f64_f32_e32 v[14:15], v27
	v_fmac_f32_e32 v85, v16, v43
	v_fma_f32 v38, v43, v17, -v44
	v_fmac_f32_e32 v86, v18, v45
	v_fma_f32 v42, v45, v19, -v46
	v_cvt_f64_f32_e32 v[16:17], v80
	v_cvt_f64_f32_e32 v[18:19], v28
	v_fmac_f32_e32 v87, v20, v47
	v_fma_f32 v46, v47, v21, -v48
	v_fmac_f32_e32 v88, v22, v49
	v_fma_f32 v50, v49, v23, -v50
	v_cvt_f64_f32_e32 v[20:21], v81
	v_cvt_f64_f32_e32 v[22:23], v29
	v_cvt_f64_f32_e32 v[24:25], v82
	v_cvt_f64_f32_e32 v[26:27], v30
	v_cvt_f64_f32_e32 v[28:29], v83
	v_cvt_f64_f32_e32 v[30:31], v31
	v_cvt_f64_f32_e32 v[32:33], v84
	v_cvt_f64_f32_e32 v[34:35], v34
	v_cvt_f64_f32_e32 v[36:37], v85
	v_cvt_f64_f32_e32 v[38:39], v38
	v_cvt_f64_f32_e32 v[40:41], v86
	v_cvt_f64_f32_e32 v[42:43], v42
	v_cvt_f64_f32_e32 v[44:45], v87
	v_cvt_f64_f32_e32 v[46:47], v46
	v_cvt_f64_f32_e32 v[48:49], v88
	v_cvt_f64_f32_e32 v[75:76], v50
	v_mul_f64 v[0:1], v[0:1], s[0:1]
	v_mul_f64 v[2:3], v[2:3], s[0:1]
	;; [unrolled: 1-line block ×26, first 2 shown]
	v_cvt_f32_f64_e32 v0, v[0:1]
	v_cvt_f32_f64_e32 v1, v[2:3]
	;; [unrolled: 1-line block ×26, first 2 shown]
	v_add_co_u32 v26, vcc_lo, v71, s2
	v_add_co_ci_u32_e32 v27, vcc_lo, s3, v72, vcc_lo
	v_add_co_u32 v28, vcc_lo, v77, v61
	v_add_co_ci_u32_e32 v29, vcc_lo, v78, v62, vcc_lo
	;; [unrolled: 2-line block ×3, first 2 shown]
	global_store_dwordx2 v[51:52], v[0:1], off
	global_store_dwordx2 v[53:54], v[2:3], off
	;; [unrolled: 1-line block ×13, first 2 shown]
.LBB0_15:
	s_endpgm
	.section	.rodata,"a",@progbits
	.p2align	6, 0x0
	.amdhsa_kernel bluestein_single_back_len260_dim1_sp_op_CI_CI
		.amdhsa_group_segment_fixed_size 4160
		.amdhsa_private_segment_fixed_size 0
		.amdhsa_kernarg_size 104
		.amdhsa_user_sgpr_count 6
		.amdhsa_user_sgpr_private_segment_buffer 1
		.amdhsa_user_sgpr_dispatch_ptr 0
		.amdhsa_user_sgpr_queue_ptr 0
		.amdhsa_user_sgpr_kernarg_segment_ptr 1
		.amdhsa_user_sgpr_dispatch_id 0
		.amdhsa_user_sgpr_flat_scratch_init 0
		.amdhsa_user_sgpr_private_segment_size 0
		.amdhsa_wavefront_size32 1
		.amdhsa_uses_dynamic_stack 0
		.amdhsa_system_sgpr_private_segment_wavefront_offset 0
		.amdhsa_system_sgpr_workgroup_id_x 1
		.amdhsa_system_sgpr_workgroup_id_y 0
		.amdhsa_system_sgpr_workgroup_id_z 0
		.amdhsa_system_sgpr_workgroup_info 0
		.amdhsa_system_vgpr_workitem_id 0
		.amdhsa_next_free_vgpr 154
		.amdhsa_next_free_sgpr 16
		.amdhsa_reserve_vcc 1
		.amdhsa_reserve_flat_scratch 0
		.amdhsa_float_round_mode_32 0
		.amdhsa_float_round_mode_16_64 0
		.amdhsa_float_denorm_mode_32 3
		.amdhsa_float_denorm_mode_16_64 3
		.amdhsa_dx10_clamp 1
		.amdhsa_ieee_mode 1
		.amdhsa_fp16_overflow 0
		.amdhsa_workgroup_processor_mode 1
		.amdhsa_memory_ordered 1
		.amdhsa_forward_progress 0
		.amdhsa_shared_vgpr_count 0
		.amdhsa_exception_fp_ieee_invalid_op 0
		.amdhsa_exception_fp_denorm_src 0
		.amdhsa_exception_fp_ieee_div_zero 0
		.amdhsa_exception_fp_ieee_overflow 0
		.amdhsa_exception_fp_ieee_underflow 0
		.amdhsa_exception_fp_ieee_inexact 0
		.amdhsa_exception_int_div_zero 0
	.end_amdhsa_kernel
	.text
.Lfunc_end0:
	.size	bluestein_single_back_len260_dim1_sp_op_CI_CI, .Lfunc_end0-bluestein_single_back_len260_dim1_sp_op_CI_CI
                                        ; -- End function
	.section	.AMDGPU.csdata,"",@progbits
; Kernel info:
; codeLenInByte = 12240
; NumSgprs: 18
; NumVgprs: 154
; ScratchSize: 0
; MemoryBound: 0
; FloatMode: 240
; IeeeMode: 1
; LDSByteSize: 4160 bytes/workgroup (compile time only)
; SGPRBlocks: 2
; VGPRBlocks: 19
; NumSGPRsForWavesPerEU: 18
; NumVGPRsForWavesPerEU: 154
; Occupancy: 6
; WaveLimiterHint : 1
; COMPUTE_PGM_RSRC2:SCRATCH_EN: 0
; COMPUTE_PGM_RSRC2:USER_SGPR: 6
; COMPUTE_PGM_RSRC2:TRAP_HANDLER: 0
; COMPUTE_PGM_RSRC2:TGID_X_EN: 1
; COMPUTE_PGM_RSRC2:TGID_Y_EN: 0
; COMPUTE_PGM_RSRC2:TGID_Z_EN: 0
; COMPUTE_PGM_RSRC2:TIDIG_COMP_CNT: 0
	.text
	.p2alignl 6, 3214868480
	.fill 48, 4, 3214868480
	.type	__hip_cuid_865fc00317332d02,@object ; @__hip_cuid_865fc00317332d02
	.section	.bss,"aw",@nobits
	.globl	__hip_cuid_865fc00317332d02
__hip_cuid_865fc00317332d02:
	.byte	0                               ; 0x0
	.size	__hip_cuid_865fc00317332d02, 1

	.ident	"AMD clang version 19.0.0git (https://github.com/RadeonOpenCompute/llvm-project roc-6.4.0 25133 c7fe45cf4b819c5991fe208aaa96edf142730f1d)"
	.section	".note.GNU-stack","",@progbits
	.addrsig
	.addrsig_sym __hip_cuid_865fc00317332d02
	.amdgpu_metadata
---
amdhsa.kernels:
  - .args:
      - .actual_access:  read_only
        .address_space:  global
        .offset:         0
        .size:           8
        .value_kind:     global_buffer
      - .actual_access:  read_only
        .address_space:  global
        .offset:         8
        .size:           8
        .value_kind:     global_buffer
      - .actual_access:  read_only
        .address_space:  global
        .offset:         16
        .size:           8
        .value_kind:     global_buffer
      - .actual_access:  read_only
        .address_space:  global
        .offset:         24
        .size:           8
        .value_kind:     global_buffer
      - .actual_access:  read_only
        .address_space:  global
        .offset:         32
        .size:           8
        .value_kind:     global_buffer
      - .offset:         40
        .size:           8
        .value_kind:     by_value
      - .address_space:  global
        .offset:         48
        .size:           8
        .value_kind:     global_buffer
      - .address_space:  global
        .offset:         56
        .size:           8
        .value_kind:     global_buffer
      - .address_space:  global
        .offset:         64
        .size:           8
        .value_kind:     global_buffer
      - .address_space:  global
        .offset:         72
        .size:           8
        .value_kind:     global_buffer
      - .offset:         80
        .size:           4
        .value_kind:     by_value
      - .address_space:  global
        .offset:         88
        .size:           8
        .value_kind:     global_buffer
      - .address_space:  global
        .offset:         96
        .size:           8
        .value_kind:     global_buffer
    .group_segment_fixed_size: 4160
    .kernarg_segment_align: 8
    .kernarg_segment_size: 104
    .language:       OpenCL C
    .language_version:
      - 2
      - 0
    .max_flat_workgroup_size: 52
    .name:           bluestein_single_back_len260_dim1_sp_op_CI_CI
    .private_segment_fixed_size: 0
    .sgpr_count:     18
    .sgpr_spill_count: 0
    .symbol:         bluestein_single_back_len260_dim1_sp_op_CI_CI.kd
    .uniform_work_group_size: 1
    .uses_dynamic_stack: false
    .vgpr_count:     154
    .vgpr_spill_count: 0
    .wavefront_size: 32
    .workgroup_processor_mode: 1
amdhsa.target:   amdgcn-amd-amdhsa--gfx1030
amdhsa.version:
  - 1
  - 2
...

	.end_amdgpu_metadata
